;; amdgpu-corpus repo=ROCm/rocFFT kind=compiled arch=gfx906 opt=O3
	.text
	.amdgcn_target "amdgcn-amd-amdhsa--gfx906"
	.amdhsa_code_object_version 6
	.protected	fft_rtc_back_len936_factors_2_2_13_2_3_3_wgs_234_tpt_78_halfLds_half_op_CI_CI_sbrr_dirReg ; -- Begin function fft_rtc_back_len936_factors_2_2_13_2_3_3_wgs_234_tpt_78_halfLds_half_op_CI_CI_sbrr_dirReg
	.globl	fft_rtc_back_len936_factors_2_2_13_2_3_3_wgs_234_tpt_78_halfLds_half_op_CI_CI_sbrr_dirReg
	.p2align	8
	.type	fft_rtc_back_len936_factors_2_2_13_2_3_3_wgs_234_tpt_78_halfLds_half_op_CI_CI_sbrr_dirReg,@function
fft_rtc_back_len936_factors_2_2_13_2_3_3_wgs_234_tpt_78_halfLds_half_op_CI_CI_sbrr_dirReg: ; @fft_rtc_back_len936_factors_2_2_13_2_3_3_wgs_234_tpt_78_halfLds_half_op_CI_CI_sbrr_dirReg
; %bb.0:
	s_load_dwordx4 s[16:19], s[4:5], 0x18
	s_load_dwordx4 s[12:15], s[4:5], 0x0
	;; [unrolled: 1-line block ×3, first 2 shown]
	v_mul_u32_u24_e32 v1, 0x349, v0
	v_lshrrev_b32_e32 v1, 16, v1
	v_mad_u64_u32 v[5:6], s[0:1], s6, 3, v[1:2]
	s_waitcnt lgkmcnt(0)
	s_load_dwordx2 s[20:21], s[16:17], 0x0
	s_load_dwordx2 s[2:3], s[18:19], 0x0
	v_mov_b32_e32 v9, 0
	v_cmp_lt_u64_e64 s[0:1], s[14:15], 2
	v_mov_b32_e32 v7, 0
	v_mov_b32_e32 v6, v9
	;; [unrolled: 1-line block ×5, first 2 shown]
	s_and_b64 vcc, exec, s[0:1]
	v_mov_b32_e32 v2, v8
	v_mov_b32_e32 v4, v6
	s_cbranch_vccnz .LBB0_8
; %bb.1:
	s_load_dwordx2 s[0:1], s[4:5], 0x10
	s_add_u32 s6, s18, 8
	s_addc_u32 s7, s19, 0
	s_add_u32 s22, s16, 8
	s_addc_u32 s23, s17, 0
	v_mov_b32_e32 v7, 0
	s_waitcnt lgkmcnt(0)
	s_add_u32 s24, s0, 8
	v_mov_b32_e32 v8, 0
	v_mov_b32_e32 v1, v7
	;; [unrolled: 1-line block ×3, first 2 shown]
	s_addc_u32 s25, s1, 0
	s_mov_b64 s[26:27], 1
	v_mov_b32_e32 v2, v8
	v_mov_b32_e32 v11, v5
.LBB0_2:                                ; =>This Inner Loop Header: Depth=1
	s_load_dwordx2 s[28:29], s[24:25], 0x0
                                        ; implicit-def: $vgpr3_vgpr4
	s_waitcnt lgkmcnt(0)
	v_or_b32_e32 v10, s29, v12
	v_cmp_ne_u64_e32 vcc, 0, v[9:10]
	s_and_saveexec_b64 s[0:1], vcc
	s_xor_b64 s[30:31], exec, s[0:1]
	s_cbranch_execz .LBB0_4
; %bb.3:                                ;   in Loop: Header=BB0_2 Depth=1
	v_cvt_f32_u32_e32 v3, s28
	v_cvt_f32_u32_e32 v4, s29
	s_sub_u32 s0, 0, s28
	s_subb_u32 s1, 0, s29
	v_mac_f32_e32 v3, 0x4f800000, v4
	v_rcp_f32_e32 v3, v3
	v_mul_f32_e32 v3, 0x5f7ffffc, v3
	v_mul_f32_e32 v4, 0x2f800000, v3
	v_trunc_f32_e32 v4, v4
	v_mac_f32_e32 v3, 0xcf800000, v4
	v_cvt_u32_f32_e32 v4, v4
	v_cvt_u32_f32_e32 v3, v3
	v_mul_lo_u32 v6, s0, v4
	v_mul_hi_u32 v10, s0, v3
	v_mul_lo_u32 v14, s1, v3
	v_mul_lo_u32 v13, s0, v3
	v_add_u32_e32 v6, v10, v6
	v_add_u32_e32 v6, v6, v14
	v_mul_hi_u32 v10, v3, v13
	v_mul_lo_u32 v14, v3, v6
	v_mul_hi_u32 v16, v3, v6
	v_mul_hi_u32 v15, v4, v13
	v_mul_lo_u32 v13, v4, v13
	v_mul_hi_u32 v17, v4, v6
	v_add_co_u32_e32 v10, vcc, v10, v14
	v_addc_co_u32_e32 v14, vcc, 0, v16, vcc
	v_mul_lo_u32 v6, v4, v6
	v_add_co_u32_e32 v10, vcc, v10, v13
	v_addc_co_u32_e32 v10, vcc, v14, v15, vcc
	v_addc_co_u32_e32 v13, vcc, 0, v17, vcc
	v_add_co_u32_e32 v6, vcc, v10, v6
	v_addc_co_u32_e32 v10, vcc, 0, v13, vcc
	v_add_co_u32_e32 v3, vcc, v3, v6
	v_addc_co_u32_e32 v4, vcc, v4, v10, vcc
	v_mul_lo_u32 v6, s0, v4
	v_mul_hi_u32 v10, s0, v3
	v_mul_lo_u32 v13, s1, v3
	v_mul_lo_u32 v14, s0, v3
	v_add_u32_e32 v6, v10, v6
	v_add_u32_e32 v6, v6, v13
	v_mul_lo_u32 v15, v3, v6
	v_mul_hi_u32 v16, v3, v14
	v_mul_hi_u32 v17, v3, v6
	;; [unrolled: 1-line block ×3, first 2 shown]
	v_mul_lo_u32 v14, v4, v14
	v_mul_hi_u32 v10, v4, v6
	v_add_co_u32_e32 v15, vcc, v16, v15
	v_addc_co_u32_e32 v16, vcc, 0, v17, vcc
	v_mul_lo_u32 v6, v4, v6
	v_add_co_u32_e32 v14, vcc, v15, v14
	v_addc_co_u32_e32 v13, vcc, v16, v13, vcc
	v_addc_co_u32_e32 v10, vcc, 0, v10, vcc
	v_add_co_u32_e32 v6, vcc, v13, v6
	v_addc_co_u32_e32 v10, vcc, 0, v10, vcc
	v_add_co_u32_e32 v6, vcc, v3, v6
	v_addc_co_u32_e32 v10, vcc, v4, v10, vcc
	v_mad_u64_u32 v[3:4], s[0:1], v11, v10, 0
	v_mul_hi_u32 v13, v11, v6
	v_add_co_u32_e32 v15, vcc, v13, v3
	v_addc_co_u32_e32 v16, vcc, 0, v4, vcc
	v_mad_u64_u32 v[3:4], s[0:1], v12, v6, 0
	v_mad_u64_u32 v[13:14], s[0:1], v12, v10, 0
	v_add_co_u32_e32 v3, vcc, v15, v3
	v_addc_co_u32_e32 v3, vcc, v16, v4, vcc
	v_addc_co_u32_e32 v4, vcc, 0, v14, vcc
	v_add_co_u32_e32 v6, vcc, v3, v13
	v_addc_co_u32_e32 v10, vcc, 0, v4, vcc
	v_mul_lo_u32 v13, s29, v6
	v_mul_lo_u32 v14, s28, v10
	v_mad_u64_u32 v[3:4], s[0:1], s28, v6, 0
	v_add3_u32 v4, v4, v14, v13
	v_sub_u32_e32 v13, v12, v4
	v_mov_b32_e32 v14, s29
	v_sub_co_u32_e32 v3, vcc, v11, v3
	v_subb_co_u32_e64 v13, s[0:1], v13, v14, vcc
	v_subrev_co_u32_e64 v14, s[0:1], s28, v3
	v_subbrev_co_u32_e64 v13, s[0:1], 0, v13, s[0:1]
	v_cmp_le_u32_e64 s[0:1], s29, v13
	v_cndmask_b32_e64 v15, 0, -1, s[0:1]
	v_cmp_le_u32_e64 s[0:1], s28, v14
	v_cndmask_b32_e64 v14, 0, -1, s[0:1]
	v_cmp_eq_u32_e64 s[0:1], s29, v13
	v_cndmask_b32_e64 v13, v15, v14, s[0:1]
	v_add_co_u32_e64 v14, s[0:1], 2, v6
	v_addc_co_u32_e64 v15, s[0:1], 0, v10, s[0:1]
	v_add_co_u32_e64 v16, s[0:1], 1, v6
	v_addc_co_u32_e64 v17, s[0:1], 0, v10, s[0:1]
	v_subb_co_u32_e32 v4, vcc, v12, v4, vcc
	v_cmp_ne_u32_e64 s[0:1], 0, v13
	v_cmp_le_u32_e32 vcc, s29, v4
	v_cndmask_b32_e64 v13, v17, v15, s[0:1]
	v_cndmask_b32_e64 v15, 0, -1, vcc
	v_cmp_le_u32_e32 vcc, s28, v3
	v_cndmask_b32_e64 v3, 0, -1, vcc
	v_cmp_eq_u32_e32 vcc, s29, v4
	v_cndmask_b32_e32 v3, v15, v3, vcc
	v_cmp_ne_u32_e32 vcc, 0, v3
	v_cndmask_b32_e64 v3, v16, v14, s[0:1]
	v_cndmask_b32_e32 v4, v10, v13, vcc
	v_cndmask_b32_e32 v3, v6, v3, vcc
.LBB0_4:                                ;   in Loop: Header=BB0_2 Depth=1
	s_andn2_saveexec_b64 s[0:1], s[30:31]
	s_cbranch_execz .LBB0_6
; %bb.5:                                ;   in Loop: Header=BB0_2 Depth=1
	v_cvt_f32_u32_e32 v3, s28
	s_sub_i32 s30, 0, s28
	v_rcp_iflag_f32_e32 v3, v3
	v_mul_f32_e32 v3, 0x4f7ffffe, v3
	v_cvt_u32_f32_e32 v3, v3
	v_mul_lo_u32 v4, s30, v3
	v_mul_hi_u32 v4, v3, v4
	v_add_u32_e32 v3, v3, v4
	v_mul_hi_u32 v3, v11, v3
	v_mul_lo_u32 v4, v3, s28
	v_add_u32_e32 v6, 1, v3
	v_sub_u32_e32 v4, v11, v4
	v_subrev_u32_e32 v10, s28, v4
	v_cmp_le_u32_e32 vcc, s28, v4
	v_cndmask_b32_e32 v4, v4, v10, vcc
	v_cndmask_b32_e32 v3, v3, v6, vcc
	v_add_u32_e32 v6, 1, v3
	v_cmp_le_u32_e32 vcc, s28, v4
	v_cndmask_b32_e32 v3, v3, v6, vcc
	v_mov_b32_e32 v4, v9
.LBB0_6:                                ;   in Loop: Header=BB0_2 Depth=1
	s_or_b64 exec, exec, s[0:1]
	v_mul_lo_u32 v6, v4, s28
	v_mul_lo_u32 v10, v3, s29
	v_mad_u64_u32 v[13:14], s[0:1], v3, s28, 0
	s_load_dwordx2 s[0:1], s[22:23], 0x0
	s_load_dwordx2 s[28:29], s[6:7], 0x0
	v_add3_u32 v6, v14, v10, v6
	v_sub_co_u32_e32 v10, vcc, v11, v13
	v_subb_co_u32_e32 v6, vcc, v12, v6, vcc
	s_waitcnt lgkmcnt(0)
	v_mul_lo_u32 v11, s0, v6
	v_mul_lo_u32 v12, s1, v10
	v_mad_u64_u32 v[7:8], s[0:1], s0, v10, v[7:8]
	s_add_u32 s26, s26, 1
	s_addc_u32 s27, s27, 0
	s_add_u32 s6, s6, 8
	v_mul_lo_u32 v6, s28, v6
	v_mul_lo_u32 v13, s29, v10
	v_mad_u64_u32 v[1:2], s[0:1], s28, v10, v[1:2]
	v_add3_u32 v8, v12, v8, v11
	s_addc_u32 s7, s7, 0
	v_mov_b32_e32 v10, s14
	s_add_u32 s22, s22, 8
	v_mov_b32_e32 v11, s15
	s_addc_u32 s23, s23, 0
	v_cmp_ge_u64_e32 vcc, s[26:27], v[10:11]
	s_add_u32 s24, s24, 8
	v_add3_u32 v2, v13, v2, v6
	s_addc_u32 s25, s25, 0
	s_cbranch_vccnz .LBB0_8
; %bb.7:                                ;   in Loop: Header=BB0_2 Depth=1
	v_mov_b32_e32 v12, v4
	v_mov_b32_e32 v11, v3
	s_branch .LBB0_2
.LBB0_8:
	s_load_dwordx2 s[0:1], s[4:5], 0x28
	s_lshl_b64 s[14:15], s[14:15], 3
	s_add_u32 s4, s18, s14
	s_addc_u32 s5, s19, s15
                                        ; implicit-def: $sgpr18
                                        ; implicit-def: $vgpr13
                                        ; implicit-def: $vgpr14
                                        ; implicit-def: $vgpr15
                                        ; implicit-def: $vgpr16
                                        ; implicit-def: $vgpr11
                                        ; implicit-def: $vgpr12
	s_waitcnt lgkmcnt(0)
	v_cmp_gt_u64_e32 vcc, s[0:1], v[3:4]
	v_cmp_le_u64_e64 s[0:1], s[0:1], v[3:4]
	s_and_saveexec_b64 s[6:7], s[0:1]
	s_xor_b64 s[0:1], exec, s[6:7]
; %bb.9:
	s_mov_b32 s6, 0x3483484
	v_mul_hi_u32 v6, v0, s6
	s_mov_b32 s18, 0
                                        ; implicit-def: $vgpr7_vgpr8
	v_mul_u32_u24_e32 v6, 0x4e, v6
	v_sub_u32_e32 v13, v0, v6
	v_add_u32_e32 v14, 0x4e, v13
	v_add_u32_e32 v15, 0x9c, v13
	;; [unrolled: 1-line block ×5, first 2 shown]
                                        ; implicit-def: $vgpr0
; %bb.10:
	s_or_saveexec_b64 s[6:7], s[0:1]
	v_mov_b32_e32 v10, s18
	v_mov_b32_e32 v27, s18
	;; [unrolled: 1-line block ×6, first 2 shown]
                                        ; implicit-def: $vgpr22
                                        ; implicit-def: $vgpr19
                                        ; implicit-def: $vgpr37
                                        ; implicit-def: $vgpr18
                                        ; implicit-def: $vgpr36
                                        ; implicit-def: $vgpr17
                                        ; implicit-def: $vgpr35
                                        ; implicit-def: $vgpr6
                                        ; implicit-def: $vgpr33
                                        ; implicit-def: $vgpr20
                                        ; implicit-def: $vgpr32
                                        ; implicit-def: $vgpr21
	s_xor_b64 exec, exec, s[6:7]
	s_cbranch_execz .LBB0_12
; %bb.11:
	s_add_u32 s0, s16, s14
	s_mov_b32 s14, 0x3483484
	v_mul_hi_u32 v6, v0, s14
	s_addc_u32 s1, s17, s15
	s_load_dwordx2 s[0:1], s[0:1], 0x0
	v_mul_u32_u24_e32 v6, 0x4e, v6
	v_sub_u32_e32 v13, v0, v6
	v_mad_u64_u32 v[9:10], s[14:15], s20, v13, 0
	s_waitcnt lgkmcnt(0)
	v_mul_lo_u32 v6, s1, v3
	v_mul_lo_u32 v16, s0, v4
	v_mad_u64_u32 v[11:12], s[0:1], s0, v3, 0
	v_mov_b32_e32 v0, v10
	v_mad_u64_u32 v[14:15], s[0:1], s21, v13, v[0:1]
	v_add3_u32 v12, v12, v16, v6
	v_lshlrev_b64 v[11:12], 2, v[11:12]
	v_mov_b32_e32 v10, v14
	v_mov_b32_e32 v0, s9
	v_add_co_u32_e64 v14, s[0:1], s8, v11
	v_lshlrev_b64 v[6:7], 2, v[7:8]
	v_add_u32_e32 v8, 0x1d4, v13
	v_addc_co_u32_e64 v0, s[0:1], v0, v12, s[0:1]
	v_mad_u64_u32 v[11:12], s[0:1], s20, v8, 0
	v_add_co_u32_e64 v42, s[0:1], v14, v6
	v_addc_co_u32_e64 v43, s[0:1], v0, v7, s[0:1]
	v_mov_b32_e32 v0, v12
	v_lshlrev_b64 v[6:7], 2, v[9:10]
	v_mad_u64_u32 v[8:9], s[0:1], s21, v8, v[0:1]
	v_add_u32_e32 v14, 0x4e, v13
	v_mad_u64_u32 v[9:10], s[0:1], s20, v14, 0
	v_add_co_u32_e64 v20, s[0:1], v42, v6
	v_mov_b32_e32 v12, v8
	v_mov_b32_e32 v0, v10
	v_addc_co_u32_e64 v21, s[0:1], v43, v7, s[0:1]
	v_lshlrev_b64 v[6:7], 2, v[11:12]
	v_mad_u64_u32 v[10:11], s[0:1], s21, v14, v[0:1]
	v_add_u32_e32 v8, 0x222, v13
	v_mad_u64_u32 v[11:12], s[0:1], s20, v8, 0
	v_add_co_u32_e64 v22, s[0:1], v42, v6
	v_mov_b32_e32 v0, v12
	v_addc_co_u32_e64 v23, s[0:1], v43, v7, s[0:1]
	v_lshlrev_b64 v[6:7], 2, v[9:10]
	v_mad_u64_u32 v[8:9], s[0:1], s21, v8, v[0:1]
	v_add_u32_e32 v15, 0x9c, v13
	v_mad_u64_u32 v[9:10], s[0:1], s20, v15, 0
	v_add_co_u32_e64 v25, s[0:1], v42, v6
	v_mov_b32_e32 v12, v8
	v_mov_b32_e32 v0, v10
	v_addc_co_u32_e64 v26, s[0:1], v43, v7, s[0:1]
	v_lshlrev_b64 v[6:7], 2, v[11:12]
	v_mad_u64_u32 v[10:11], s[0:1], s21, v15, v[0:1]
	v_add_u32_e32 v8, 0x270, v13
	v_mad_u64_u32 v[11:12], s[0:1], s20, v8, 0
	v_add_co_u32_e64 v28, s[0:1], v42, v6
	v_mov_b32_e32 v0, v12
	v_addc_co_u32_e64 v29, s[0:1], v43, v7, s[0:1]
	;; [unrolled: 15-line block ×3, first 2 shown]
	v_lshlrev_b64 v[6:7], 2, v[9:10]
	v_mad_u64_u32 v[8:9], s[0:1], s21, v8, v[0:1]
	v_add_co_u32_e64 v34, s[0:1], v42, v6
	v_mov_b32_e32 v12, v8
	v_addc_co_u32_e64 v35, s[0:1], v43, v7, s[0:1]
	v_lshlrev_b64 v[6:7], 2, v[11:12]
	v_add_u32_e32 v11, 0x138, v13
	v_mad_u64_u32 v[36:37], s[0:1], s20, v11, 0
	v_add_co_u32_e64 v38, s[0:1], v42, v6
	v_mov_b32_e32 v0, v37
	v_add_u32_e32 v12, 0x30c, v13
	v_addc_co_u32_e64 v39, s[0:1], v43, v7, s[0:1]
	v_mad_u64_u32 v[7:8], s[0:1], s21, v11, v[0:1]
	v_mad_u64_u32 v[40:41], s[0:1], s20, v12, 0
	v_mov_b32_e32 v37, v7
	global_load_dword v10, v[20:21], off
	global_load_dword v19, v[22:23], off
	;; [unrolled: 1-line block ×8, first 2 shown]
	v_mov_b32_e32 v0, v41
	v_lshlrev_b64 v[7:8], 2, v[36:37]
	v_mad_u64_u32 v[20:21], s[0:1], s21, v12, v[0:1]
	v_add_co_u32_e64 v7, s[0:1], v42, v7
	v_add_u32_e32 v12, 0x186, v13
	v_addc_co_u32_e64 v8, s[0:1], v43, v8, s[0:1]
	v_mad_u64_u32 v[22:23], s[0:1], s20, v12, 0
	v_mov_b32_e32 v41, v20
	v_lshlrev_b64 v[20:21], 2, v[40:41]
	v_mov_b32_e32 v0, v23
	v_add_co_u32_e64 v25, s[0:1], v42, v20
	v_addc_co_u32_e64 v26, s[0:1], v43, v21, s[0:1]
	v_mad_u64_u32 v[28:29], s[0:1], s21, v12, v[0:1]
	v_add_u32_e32 v21, 0x35a, v13
	v_mad_u64_u32 v[29:30], s[0:1], s20, v21, 0
	v_mov_b32_e32 v23, v28
	global_load_dword v31, v[7:8], off
	global_load_dword v20, v[25:26], off
	v_mov_b32_e32 v0, v30
	v_lshlrev_b64 v[7:8], 2, v[22:23]
	v_mad_u64_u32 v[21:22], s[0:1], s21, v21, v[0:1]
	v_add_co_u32_e64 v7, s[0:1], v42, v7
	v_mov_b32_e32 v30, v21
	v_lshlrev_b64 v[21:22], 2, v[29:30]
	v_addc_co_u32_e64 v8, s[0:1], v43, v8, s[0:1]
	v_add_co_u32_e64 v25, s[0:1], v42, v21
	v_addc_co_u32_e64 v26, s[0:1], v43, v22, s[0:1]
	global_load_dword v21, v[25:26], off
	global_load_dword v34, v[7:8], off
	s_waitcnt vmcnt(10)
	v_lshrrev_b32_e32 v22, 16, v19
	s_waitcnt vmcnt(8)
	v_lshrrev_b32_e32 v37, 16, v18
	;; [unrolled: 2-line block ×6, first 2 shown]
.LBB0_12:
	s_or_b64 exec, exec, s[6:7]
	s_mov_b32 s0, 0xaaaaaaab
	v_mul_hi_u32 v0, v5, s0
	v_sub_f16_e32 v8, v10, v19
	v_lshrrev_b32_e32 v7, 16, v10
	v_fma_f16 v10, v10, 2.0, -v8
	v_lshrrev_b32_e32 v0, 1, v0
	v_lshl_add_u32 v0, v0, 1, v0
	v_sub_u32_e32 v0, v5, v0
	v_mul_u32_u24_e32 v0, 0x3a8, v0
	v_lshlrev_b32_e32 v23, 1, v0
	v_sub_f16_e32 v18, v27, v18
	v_add_u32_e32 v39, 0, v23
	v_fma_f16 v19, v27, 2.0, -v18
	v_sub_f16_e32 v17, v24, v17
	v_pack_b32_f16 v0, v10, v8
	v_lshl_add_u32 v38, v13, 2, v39
	ds_write_b32 v38, v0
	v_fma_f16 v0, v24, 2.0, -v17
	v_sub_f16_e32 v6, v9, v6
	v_pack_b32_f16 v8, v19, v18
	v_lshl_add_u32 v40, v14, 2, v39
	ds_write_b32 v40, v8
	;; [unrolled: 5-line block ×3, first 2 shown]
	v_fma_f16 v0, v31, 2.0, -v10
	s_waitcnt vmcnt(0)
	v_sub_f16_e32 v17, v34, v21
	v_pack_b32_f16 v6, v8, v6
	v_lshl_add_u32 v42, v16, 2, v39
	v_lshrrev_b32_e32 v27, 16, v27
	v_sub_f16_e32 v5, v7, v22
	ds_write_b32 v42, v6
	v_fma_f16 v6, v34, 2.0, -v17
	v_pack_b32_f16 v0, v0, v10
	v_lshl_add_u32 v43, v11, 2, v39
	v_sub_f16_e32 v37, v27, v37
	v_fma_f16 v7, v7, 2.0, -v5
	ds_write_b32 v43, v0
	v_lshl_add_u32 v44, v12, 2, v39
	v_pack_b32_f16 v0, v6, v17
	v_lshlrev_b32_e32 v8, 1, v13
	v_lshlrev_b32_e32 v6, 1, v15
	v_fma_f16 v27, v27, 2.0, -v37
	ds_write_b32 v44, v0
	v_pack_b32_f16 v45, v7, v5
	v_lshlrev_b32_e32 v47, 1, v11
	v_lshlrev_b32_e32 v48, 1, v12
	v_add_u32_e32 v0, v39, v8
	v_lshlrev_b32_e32 v5, 1, v14
	v_sub_u32_e32 v19, v41, v6
	v_lshlrev_b32_e32 v7, 1, v16
	v_pack_b32_f16 v27, v27, v37
	v_lshrrev_b32_e32 v24, 16, v24
	s_load_dwordx2 s[4:5], s[4:5], 0x0
	s_waitcnt lgkmcnt(0)
	s_barrier
	v_add3_u32 v17, 0, v8, v23
	v_sub_u32_e32 v18, v40, v5
	v_sub_u32_e32 v20, v42, v7
	;; [unrolled: 1-line block ×3, first 2 shown]
	ds_read_u16 v49, v0
	ds_read_u16 v29, v17 offset:936
	ds_read_u16 v28, v17 offset:1092
	;; [unrolled: 1-line block ×5, first 2 shown]
	v_sub_u32_e32 v22, v44, v48
	ds_read_u16 v56, v19
	ds_read_u16 v57, v20
	;; [unrolled: 1-line block ×5, first 2 shown]
	ds_read_u16 v30, v17 offset:1716
	s_waitcnt lgkmcnt(0)
	s_barrier
	ds_write_b32 v38, v45
	ds_write_b32 v40, v27
	v_sub_f16_e32 v27, v24, v36
	v_fma_f16 v24, v24, 2.0, -v27
	v_pack_b32_f16 v24, v24, v27
	v_lshrrev_b32_e32 v9, 16, v9
	ds_write_b32 v41, v24
	v_sub_f16_e32 v24, v9, v35
	v_fma_f16 v9, v9, 2.0, -v24
	v_pack_b32_f16 v9, v9, v24
	ds_write_b32 v42, v9
	v_lshrrev_b32_e32 v9, 16, v31
	v_sub_f16_e32 v24, v9, v33
	v_fma_f16 v9, v9, 2.0, -v24
	v_pack_b32_f16 v9, v9, v24
	ds_write_b32 v43, v9
	v_lshrrev_b32_e32 v9, 16, v34
	v_sub_f16_e32 v24, v9, v32
	v_fma_f16 v9, v9, 2.0, -v24
	v_pack_b32_f16 v9, v9, v24
	v_and_b32_e32 v24, 1, v13
	ds_write_b32 v44, v9
	v_lshlrev_b32_e32 v9, 2, v24
	s_waitcnt lgkmcnt(0)
	s_barrier
	global_load_dword v46, v9, s[12:13]
	s_movk_i32 s0, 0xfc
	v_and_or_b32 v9, v8, s0, v24
	s_movk_i32 s0, 0x1fc
	v_and_or_b32 v27, v5, s0, v24
	s_movk_i32 s0, 0x3fc
	v_lshl_add_u32 v37, v27, 1, v39
	v_and_or_b32 v27, v6, s0, v24
	v_lshl_add_u32 v38, v27, 1, v39
	v_and_or_b32 v27, v7, s0, v24
	;; [unrolled: 2-line block ×3, first 2 shown]
	s_movk_i32 s0, 0x7fc
	v_and_or_b32 v24, v48, s0, v24
	ds_read_u16 v53, v17 offset:936
	ds_read_u16 v52, v17 offset:1092
	;; [unrolled: 1-line block ×6, first 2 shown]
	ds_read_u16 v54, v18
	ds_read_u16 v55, v0
	v_lshl_add_u32 v42, v27, 1, v39
	v_lshl_add_u32 v9, v9, 1, v39
	;; [unrolled: 1-line block ×3, first 2 shown]
	s_movk_i32 s0, 0x48
	v_cmp_gt_u32_e64 s[0:1], s0, v13
	s_waitcnt vmcnt(0) lgkmcnt(5)
	v_mul_f16_sdwa v31, v51, v46 dst_sel:DWORD dst_unused:UNUSED_PAD src0_sel:DWORD src1_sel:WORD_1
	v_fma_f16 v32, v26, v46, v31
	s_waitcnt lgkmcnt(4)
	v_mul_f16_sdwa v31, v50, v46 dst_sel:DWORD dst_unused:UNUSED_PAD src0_sel:DWORD src1_sel:WORD_1
	v_fma_f16 v33, v25, v46, v31
	s_waitcnt lgkmcnt(3)
	v_mul_f16_sdwa v31, v48, v46 dst_sel:DWORD dst_unused:UNUSED_PAD src0_sel:DWORD src1_sel:WORD_1
	v_mul_f16_sdwa v27, v52, v46 dst_sel:DWORD dst_unused:UNUSED_PAD src0_sel:DWORD src1_sel:WORD_1
	v_fma_f16 v34, v10, v46, v31
	s_waitcnt lgkmcnt(2)
	v_mul_f16_sdwa v31, v47, v46 dst_sel:DWORD dst_unused:UNUSED_PAD src0_sel:DWORD src1_sel:WORD_1
	v_fma_f16 v27, v28, v46, v27
	v_fma_f16 v44, v30, v46, v31
	v_sub_f16_e32 v31, v60, v27
	v_sub_f16_e32 v27, v56, v32
	;; [unrolled: 1-line block ×5, first 2 shown]
	v_fma_f16 v32, v56, 2.0, -v27
	v_fma_f16 v39, v57, 2.0, -v33
	;; [unrolled: 1-line block ×4, first 2 shown]
	ds_read_u16 v59, v19
	ds_read_u16 v58, v20
	;; [unrolled: 1-line block ×4, first 2 shown]
	v_mul_f16_sdwa v24, v53, v46 dst_sel:DWORD dst_unused:UNUSED_PAD src0_sel:DWORD src1_sel:WORD_1
	v_fma_f16 v24, v29, v46, v24
	v_sub_f16_e32 v35, v49, v24
	v_fma_f16 v24, v49, 2.0, -v35
	v_fma_f16 v36, v60, 2.0, -v31
	s_waitcnt lgkmcnt(0)
	s_barrier
	ds_write_b16 v9, v24
	ds_write_b16 v9, v35 offset:4
	ds_write_b16 v37, v36
	ds_write_b16 v37, v31 offset:4
	;; [unrolled: 2-line block ×6, first 2 shown]
	s_waitcnt lgkmcnt(0)
	s_barrier
	s_waitcnt lgkmcnt(0)
                                        ; implicit-def: $vgpr49
	s_and_saveexec_b64 s[6:7], s[0:1]
	s_cbranch_execz .LBB0_14
; %bb.13:
	ds_read_u16 v24, v0
	ds_read_u16 v35, v17 offset:144
	ds_read_u16 v36, v17 offset:288
	;; [unrolled: 1-line block ×12, first 2 shown]
.LBB0_14:
	s_or_b64 exec, exec, s[6:7]
	v_mul_f16_sdwa v10, v10, v46 dst_sel:DWORD dst_unused:UNUSED_PAD src0_sel:DWORD src1_sel:WORD_1
	v_mul_f16_sdwa v29, v29, v46 dst_sel:DWORD dst_unused:UNUSED_PAD src0_sel:DWORD src1_sel:WORD_1
	;; [unrolled: 1-line block ×5, first 2 shown]
	v_fma_f16 v48, v48, v46, -v10
	v_mul_f16_sdwa v10, v30, v46 dst_sel:DWORD dst_unused:UNUSED_PAD src0_sel:DWORD src1_sel:WORD_1
	v_fma_f16 v29, v53, v46, -v29
	v_fma_f16 v28, v52, v46, -v28
	;; [unrolled: 1-line block ×5, first 2 shown]
	v_sub_f16_e32 v53, v55, v29
	v_sub_f16_e32 v29, v54, v28
	;; [unrolled: 1-line block ×6, first 2 shown]
	v_fma_f16 v10, v55, 2.0, -v53
	v_fma_f16 v52, v54, 2.0, -v29
	;; [unrolled: 1-line block ×6, first 2 shown]
	s_waitcnt lgkmcnt(0)
	s_barrier
	ds_write_b16 v9, v10
	ds_write_b16 v9, v53 offset:4
	ds_write_b16 v37, v52
	ds_write_b16 v37, v29 offset:4
	;; [unrolled: 2-line block ×6, first 2 shown]
	s_waitcnt lgkmcnt(0)
	s_barrier
	s_waitcnt lgkmcnt(0)
                                        ; implicit-def: $vgpr50
	s_and_saveexec_b64 s[6:7], s[0:1]
	s_cbranch_execz .LBB0_16
; %bb.15:
	ds_read_u16 v10, v0
	ds_read_u16 v53, v17 offset:144
	ds_read_u16 v52, v17 offset:288
	ds_read_u16 v29, v17 offset:432
	ds_read_u16 v30, v17 offset:576
	ds_read_u16 v25, v17 offset:720
	ds_read_u16 v26, v17 offset:864
	ds_read_u16 v28, v17 offset:1008
	ds_read_u16 v51, v17 offset:1152
	ds_read_u16 v46, v17 offset:1296
	ds_read_u16 v48, v17 offset:1440
	ds_read_u16 v47, v17 offset:1584
	ds_read_u16 v50, v17 offset:1728
.LBB0_16:
	s_or_b64 exec, exec, s[6:7]
	v_and_b32_e32 v9, 3, v13
	v_mul_u32_u24_e32 v37, 12, v9
	v_lshlrev_b32_e32 v43, 2, v37
	global_load_dwordx4 v[54:57], v43, s[12:13] offset:8
	s_waitcnt vmcnt(0) lgkmcnt(11)
	v_mul_f16_sdwa v37, v53, v54 dst_sel:DWORD dst_unused:UNUSED_PAD src0_sel:DWORD src1_sel:WORD_1
	v_fma_f16 v41, v35, v54, v37
	v_mul_f16_sdwa v35, v35, v54 dst_sel:DWORD dst_unused:UNUSED_PAD src0_sel:DWORD src1_sel:WORD_1
	v_fma_f16 v42, v53, v54, -v35
	s_waitcnt lgkmcnt(10)
	v_mul_f16_sdwa v35, v52, v55 dst_sel:DWORD dst_unused:UNUSED_PAD src0_sel:DWORD src1_sel:WORD_1
	v_fma_f16 v37, v36, v55, v35
	v_mul_f16_sdwa v35, v36, v55 dst_sel:DWORD dst_unused:UNUSED_PAD src0_sel:DWORD src1_sel:WORD_1
	v_fma_f16 v38, v52, v55, -v35
	global_load_dwordx4 v[52:55], v43, s[12:13] offset:24
	s_waitcnt lgkmcnt(9)
	v_mul_f16_sdwa v35, v29, v56 dst_sel:DWORD dst_unused:UNUSED_PAD src0_sel:DWORD src1_sel:WORD_1
	v_fma_f16 v35, v31, v56, v35
	v_mul_f16_sdwa v31, v31, v56 dst_sel:DWORD dst_unused:UNUSED_PAD src0_sel:DWORD src1_sel:WORD_1
	v_fma_f16 v36, v29, v56, -v31
	v_mul_f16_sdwa v31, v32, v57 dst_sel:DWORD dst_unused:UNUSED_PAD src0_sel:DWORD src1_sel:WORD_1
	s_waitcnt lgkmcnt(8)
	v_mul_f16_sdwa v29, v30, v57 dst_sel:DWORD dst_unused:UNUSED_PAD src0_sel:DWORD src1_sel:WORD_1
	v_fma_f16 v30, v30, v57, -v31
	v_fma_f16 v29, v32, v57, v29
	s_waitcnt vmcnt(0) lgkmcnt(7)
	v_mul_f16_sdwa v31, v25, v52 dst_sel:DWORD dst_unused:UNUSED_PAD src0_sel:DWORD src1_sel:WORD_1
	v_fma_f16 v31, v27, v52, v31
	v_mul_f16_sdwa v27, v27, v52 dst_sel:DWORD dst_unused:UNUSED_PAD src0_sel:DWORD src1_sel:WORD_1
	v_fma_f16 v32, v25, v52, -v27
	v_mul_f16_sdwa v27, v39, v53 dst_sel:DWORD dst_unused:UNUSED_PAD src0_sel:DWORD src1_sel:WORD_1
	s_waitcnt lgkmcnt(6)
	v_mul_f16_sdwa v25, v26, v53 dst_sel:DWORD dst_unused:UNUSED_PAD src0_sel:DWORD src1_sel:WORD_1
	v_fma_f16 v26, v26, v53, -v27
	s_waitcnt lgkmcnt(5)
	v_mul_f16_sdwa v27, v28, v54 dst_sel:DWORD dst_unused:UNUSED_PAD src0_sel:DWORD src1_sel:WORD_1
	v_fma_f16 v27, v33, v54, v27
	v_mul_f16_sdwa v33, v33, v54 dst_sel:DWORD dst_unused:UNUSED_PAD src0_sel:DWORD src1_sel:WORD_1
	v_fma_f16 v28, v28, v54, -v33
	s_waitcnt lgkmcnt(4)
	v_mul_f16_sdwa v33, v51, v55 dst_sel:DWORD dst_unused:UNUSED_PAD src0_sel:DWORD src1_sel:WORD_1
	v_fma_f16 v33, v34, v55, v33
	v_mul_f16_sdwa v34, v34, v55 dst_sel:DWORD dst_unused:UNUSED_PAD src0_sel:DWORD src1_sel:WORD_1
	v_fma_f16 v25, v39, v53, v25
	v_fma_f16 v34, v51, v55, -v34
	global_load_dwordx4 v[51:54], v43, s[12:13] offset:40
	s_waitcnt vmcnt(0) lgkmcnt(0)
	s_barrier
	v_mul_f16_sdwa v39, v46, v51 dst_sel:DWORD dst_unused:UNUSED_PAD src0_sel:DWORD src1_sel:WORD_1
	v_fma_f16 v39, v40, v51, v39
	v_mul_f16_sdwa v40, v40, v51 dst_sel:DWORD dst_unused:UNUSED_PAD src0_sel:DWORD src1_sel:WORD_1
	v_fma_f16 v40, v46, v51, -v40
	v_mul_f16_sdwa v46, v47, v53 dst_sel:DWORD dst_unused:UNUSED_PAD src0_sel:DWORD src1_sel:WORD_1
	v_mul_f16_sdwa v43, v48, v52 dst_sel:DWORD dst_unused:UNUSED_PAD src0_sel:DWORD src1_sel:WORD_1
	v_fma_f16 v46, v45, v53, v46
	v_mul_f16_sdwa v45, v45, v53 dst_sel:DWORD dst_unused:UNUSED_PAD src0_sel:DWORD src1_sel:WORD_1
	v_fma_f16 v43, v44, v52, v43
	v_mul_f16_sdwa v44, v44, v52 dst_sel:DWORD dst_unused:UNUSED_PAD src0_sel:DWORD src1_sel:WORD_1
	v_fma_f16 v47, v47, v53, -v45
	v_mul_f16_sdwa v45, v50, v54 dst_sel:DWORD dst_unused:UNUSED_PAD src0_sel:DWORD src1_sel:WORD_1
	v_fma_f16 v44, v48, v52, -v44
	v_fma_f16 v48, v49, v54, v45
	v_mul_f16_sdwa v45, v49, v54 dst_sel:DWORD dst_unused:UNUSED_PAD src0_sel:DWORD src1_sel:WORD_1
	v_fma_f16 v49, v50, v54, -v45
	v_lshrrev_b32_e32 v45, 2, v13
	s_and_saveexec_b64 s[6:7], s[0:1]
	s_cbranch_execz .LBB0_18
; %bb.17:
	v_sub_f16_e32 v51, v42, v49
	v_add_f16_e32 v50, v41, v48
	v_mul_f16_e32 v52, 0xb3a8, v51
	s_mov_b32 s8, 0xbbc4
	v_sub_f16_e32 v55, v38, v47
	v_fma_f16 v53, v50, s8, -v52
	v_add_f16_e32 v54, v37, v46
	v_mul_f16_e32 v56, 0x3770, v55
	s_movk_i32 s9, 0x3b15
	v_add_f16_e32 v53, v24, v53
	v_fma_f16 v57, v54, s9, -v56
	v_sub_f16_e32 v58, v36, v44
	v_add_f16_e32 v53, v57, v53
	v_add_f16_e32 v57, v35, v43
	v_mul_f16_e32 v59, 0xb94e, v58
	s_mov_b32 s14, 0xb9fd
	v_fma_f16 v60, v57, s14, -v59
	v_sub_f16_e32 v61, v30, v40
	v_add_f16_e32 v53, v60, v53
	v_add_f16_e32 v60, v29, v39
	v_mul_f16_e32 v62, 0x3a95, v61
	s_movk_i32 s15, 0x388b
	v_fma_f16 v52, v50, s8, v52
	v_fma_f16 v63, v60, s15, -v62
	v_sub_f16_e32 v64, v32, v34
	v_add_f16_e32 v52, v24, v52
	v_fma_f16 v56, v54, s9, v56
	v_add_f16_e32 v53, v63, v53
	v_add_f16_e32 v63, v31, v33
	v_mul_f16_e32 v65, 0xbb7b, v64
	s_mov_b32 s16, 0xb5ac
	v_add_f16_e32 v52, v56, v52
	v_fma_f16 v56, v57, s14, v59
	v_fma_f16 v66, v63, s16, -v65
	v_sub_f16_e32 v67, v26, v28
	v_add_f16_e32 v52, v56, v52
	v_fma_f16 v56, v60, s15, v62
	v_add_f16_e32 v53, v66, v53
	v_add_f16_e32 v66, v25, v27
	v_mul_f16_e32 v68, 0x3bf1, v67
	s_movk_i32 s17, 0x2fb7
	v_add_f16_e32 v52, v56, v52
	v_fma_f16 v56, v63, s16, v65
	v_add_f16_e32 v52, v56, v52
	v_fma_f16 v56, v66, s17, v68
	v_add_f16_e32 v52, v56, v52
	v_mul_f16_e32 v56, 0xb94e, v51
	v_fma_f16 v59, v50, s14, -v56
	v_mul_f16_e32 v62, 0x3bf1, v55
	v_add_f16_e32 v59, v24, v59
	v_fma_f16 v65, v54, s17, -v62
	v_add_f16_e32 v59, v65, v59
	v_mul_f16_e32 v65, 0xba95, v58
	v_fma_f16 v69, v66, s17, -v68
	v_fma_f16 v68, v57, s15, -v65
	v_add_f16_e32 v59, v68, v59
	v_mul_f16_e32 v68, 0x33a8, v61
	v_fma_f16 v56, v50, s14, v56
	v_add_f16_e32 v53, v69, v53
	v_fma_f16 v69, v60, s8, -v68
	v_add_f16_e32 v56, v24, v56
	v_fma_f16 v62, v54, s17, v62
	v_add_f16_e32 v59, v69, v59
	v_mul_f16_e32 v69, 0x3770, v64
	v_add_f16_e32 v56, v62, v56
	v_fma_f16 v62, v57, s15, v65
	v_fma_f16 v70, v63, s9, -v69
	v_add_f16_e32 v56, v62, v56
	v_fma_f16 v62, v60, s8, v68
	v_add_f16_e32 v59, v70, v59
	v_mul_f16_e32 v70, 0xbb7b, v67
	v_add_f16_e32 v56, v62, v56
	v_fma_f16 v62, v63, s9, v69
	v_add_f16_e32 v56, v62, v56
	v_fma_f16 v62, v66, s16, v70
	v_add_f16_e32 v56, v62, v56
	v_mul_f16_e32 v62, 0xbb7b, v51
	v_fma_f16 v65, v50, s16, -v62
	v_mul_f16_e32 v68, 0x394e, v55
	v_add_f16_e32 v65, v24, v65
	v_fma_f16 v69, v54, s14, -v68
	v_add_f16_e32 v65, v69, v65
	v_mul_f16_e32 v69, 0x3770, v58
	v_fma_f16 v71, v66, s16, -v70
	v_fma_f16 v70, v57, s9, -v69
	v_add_f16_e32 v65, v70, v65
	v_mul_f16_e32 v70, 0xbbf1, v61
	v_fma_f16 v62, v50, s16, v62
	v_add_f16_e32 v59, v71, v59
	v_fma_f16 v71, v60, s17, -v70
	v_add_f16_e32 v62, v24, v62
	v_fma_f16 v68, v54, s14, v68
	v_add_f16_e32 v65, v71, v65
	v_mul_f16_e32 v71, 0x33a8, v64
	v_add_f16_e32 v62, v68, v62
	v_fma_f16 v68, v57, s9, v69
	v_fma_f16 v72, v63, s8, -v71
	v_add_f16_e32 v62, v68, v62
	v_fma_f16 v68, v60, s17, v70
	v_add_f16_e32 v65, v72, v65
	v_mul_f16_e32 v72, 0x3a95, v67
	;; [unrolled: 30-line block ×4, first 2 shown]
	v_add_f16_e32 v70, v72, v70
	v_add_f16_e32 v72, v24, v41
	v_fma_f16 v73, v63, s17, v75
	v_add_f16_e32 v72, v72, v37
	v_add_f16_e32 v70, v73, v70
	v_fma_f16 v73, v66, s9, v76
	v_mul_f16_e32 v51, 0xb770, v51
	v_add_f16_e32 v72, v72, v35
	v_add_f16_e32 v70, v73, v70
	v_fma_f16 v73, v50, s9, -v51
	v_mul_f16_e32 v55, 0xba95, v55
	v_fma_f16 v50, v50, s9, v51
	v_add_f16_e32 v72, v72, v29
	v_add_f16_e32 v73, v24, v73
	v_mul_f16_e32 v58, 0xbbf1, v58
	v_add_f16_e32 v24, v24, v50
	v_fma_f16 v50, v54, s15, v55
	v_add_f16_e32 v72, v72, v31
	v_mul_f16_e32 v61, 0xbb7b, v61
	v_add_f16_e32 v24, v50, v24
	v_fma_f16 v50, v57, s17, v58
	;; [unrolled: 4-line block ×4, first 2 shown]
	v_add_f16_e32 v72, v72, v33
	v_fma_f16 v74, v54, s15, -v55
	v_add_f16_e32 v24, v50, v24
	v_fma_f16 v50, v66, s8, v67
	v_add_f16_e32 v72, v72, v39
	v_add_f16_e32 v73, v74, v73
	v_fma_f16 v74, v57, s17, -v58
	v_add_f16_e32 v24, v50, v24
	v_mul_u32_u24_e32 v50, 52, v45
	v_add_f16_e32 v72, v72, v43
	v_add_f16_e32 v73, v74, v73
	v_fma_f16 v74, v60, s16, -v61
	v_or_b32_e32 v50, v50, v9
	v_add_f16_e32 v72, v72, v46
	v_add_f16_e32 v73, v74, v73
	v_fma_f16 v74, v63, s14, -v64
	v_lshlrev_b32_e32 v50, 1, v50
	v_fma_f16 v77, v66, s9, -v76
	v_add_f16_e32 v72, v72, v48
	v_add_f16_e32 v73, v74, v73
	v_fma_f16 v74, v66, s8, -v67
	v_add3_u32 v50, 0, v50, v23
	v_add_f16_e32 v71, v77, v71
	v_add_f16_e32 v73, v74, v73
	ds_write_b16 v50, v72
	ds_write_b16 v50, v24 offset:8
	ds_write_b16 v50, v70 offset:16
	;; [unrolled: 1-line block ×12, first 2 shown]
.LBB0_18:
	s_or_b64 exec, exec, s[6:7]
	s_waitcnt lgkmcnt(0)
	s_barrier
	ds_read_u16 v52, v0
	ds_read_u16 v60, v17 offset:936
	ds_read_u16 v55, v17 offset:1092
	;; [unrolled: 1-line block ×5, first 2 shown]
	ds_read_u16 v53, v19
	ds_read_u16 v51, v20
	;; [unrolled: 1-line block ×5, first 2 shown]
	ds_read_u16 v59, v17 offset:1716
	s_waitcnt lgkmcnt(0)
	s_barrier
	s_and_saveexec_b64 s[6:7], s[0:1]
	s_cbranch_execz .LBB0_20
; %bb.19:
	v_add_f16_e32 v61, v10, v42
	v_add_f16_e32 v61, v61, v38
	v_add_f16_e32 v61, v61, v36
	v_add_f16_e32 v61, v61, v30
	v_add_f16_e32 v61, v61, v32
	v_add_f16_e32 v61, v61, v26
	v_add_f16_e32 v61, v61, v28
	v_add_f16_e32 v61, v61, v34
	v_add_f16_e32 v61, v61, v40
	v_add_f16_e32 v61, v61, v44
	v_add_f16_e32 v42, v42, v49
	v_add_f16_e32 v61, v61, v47
	v_sub_f16_e32 v41, v41, v48
	v_mul_f16_e32 v48, 0x3b15, v42
	s_movk_i32 s0, 0x3770
	s_mov_b32 s1, 0xb770
	v_mul_f16_e32 v62, 0x388b, v42
	s_movk_i32 s8, 0x3a95
	s_mov_b32 s9, 0xba95
	;; [unrolled: 3-line block ×6, first 2 shown]
	v_add_f16_e32 v61, v61, v49
	v_fma_f16 v49, v41, s0, v48
	v_fma_f16 v48, v41, s1, v48
	;; [unrolled: 1-line block ×12, first 2 shown]
	v_add_f16_e32 v38, v38, v47
	v_add_f16_e32 v49, v10, v49
	v_add_f16_e32 v48, v10, v48
	v_add_f16_e32 v63, v10, v63
	v_add_f16_e32 v62, v10, v62
	v_add_f16_e32 v65, v10, v65
	v_add_f16_e32 v64, v10, v64
	v_add_f16_e32 v67, v10, v67
	v_add_f16_e32 v66, v10, v66
	v_add_f16_e32 v69, v10, v69
	v_add_f16_e32 v68, v10, v68
	v_add_f16_e32 v70, v10, v70
	v_add_f16_e32 v10, v10, v41
	v_sub_f16_e32 v37, v37, v46
	v_mul_f16_e32 v41, 0x388b, v38
	v_fma_f16 v42, v37, s8, v41
	v_fma_f16 v41, v37, s9, v41
	v_mul_f16_e32 v46, 0xb5ac, v38
	v_add_f16_e32 v41, v41, v48
	v_fma_f16 v47, v37, s16, v46
	v_fma_f16 v46, v37, s17, v46
	v_mul_f16_e32 v48, 0xbbc4, v38
	v_add_f16_e32 v42, v42, v49
	v_add_f16_e32 v46, v46, v62
	v_fma_f16 v49, v37, s20, v48
	v_fma_f16 v48, v37, s21, v48
	v_mul_f16_e32 v62, 0xb9fd, v38
	v_add_f16_e32 v47, v47, v63
	v_add_f16_e32 v48, v48, v64
	v_fma_f16 v63, v37, s19, v62
	v_fma_f16 v62, v37, s18, v62
	v_mul_f16_e32 v64, 0x2fb7, v38
	v_mul_f16_e32 v38, 0x3b15, v38
	v_add_f16_e32 v49, v49, v65
	v_add_f16_e32 v62, v62, v66
	v_fma_f16 v65, v37, s15, v64
	v_fma_f16 v64, v37, s14, v64
	;; [unrolled: 1-line block ×4, first 2 shown]
	v_add_f16_e32 v36, v36, v44
	v_add_f16_e32 v10, v37, v10
	v_sub_f16_e32 v35, v35, v43
	v_mul_f16_e32 v37, 0x2fb7, v36
	v_fma_f16 v38, v35, s14, v37
	v_fma_f16 v37, v35, s15, v37
	v_add_f16_e32 v37, v37, v41
	v_mul_f16_e32 v41, 0xbbc4, v36
	v_add_f16_e32 v38, v38, v42
	v_fma_f16 v42, v35, s20, v41
	v_fma_f16 v41, v35, s21, v41
	v_mul_f16_e32 v43, 0xb5ac, v36
	v_add_f16_e32 v41, v41, v46
	v_fma_f16 v44, v35, s17, v43
	v_fma_f16 v43, v35, s16, v43
	v_mul_f16_e32 v46, 0x3b15, v36
	v_add_f16_e32 v42, v42, v47
	v_add_f16_e32 v43, v43, v48
	v_fma_f16 v47, v35, s1, v46
	v_fma_f16 v46, v35, s0, v46
	v_mul_f16_e32 v48, 0x388b, v36
	v_mul_f16_e32 v36, 0xb9fd, v36
	v_add_f16_e32 v44, v44, v49
	v_add_f16_e32 v46, v46, v62
	v_fma_f16 v49, v35, s8, v48
	v_fma_f16 v48, v35, s9, v48
	;; [unrolled: 1-line block ×4, first 2 shown]
	v_add_f16_e32 v30, v30, v40
	v_add_f16_e32 v10, v35, v10
	v_sub_f16_e32 v29, v29, v39
	v_mul_f16_e32 v35, 0xb5ac, v30
	v_fma_f16 v36, v29, s16, v35
	v_fma_f16 v35, v29, s17, v35
	v_add_f16_e32 v35, v35, v37
	v_mul_f16_e32 v37, 0xb9fd, v30
	v_add_f16_e32 v36, v36, v38
	v_fma_f16 v38, v29, s19, v37
	v_fma_f16 v37, v29, s18, v37
	v_mul_f16_e32 v39, 0x3b15, v30
	v_add_f16_e32 v37, v37, v41
	v_fma_f16 v40, v29, s1, v39
	v_fma_f16 v39, v29, s0, v39
	v_mul_f16_e32 v41, 0x2fb7, v30
	v_add_f16_e32 v38, v38, v42
	v_add_f16_e32 v39, v39, v43
	v_fma_f16 v42, v29, s14, v41
	v_fma_f16 v41, v29, s15, v41
	v_mul_f16_e32 v43, 0xbbc4, v30
	v_mul_f16_e32 v30, 0x388b, v30
	v_add_f16_e32 v40, v40, v44
	v_add_f16_e32 v41, v41, v46
	v_fma_f16 v44, v29, s21, v43
	v_fma_f16 v43, v29, s20, v43
	;; [unrolled: 1-line block ×4, first 2 shown]
	v_add_f16_e32 v10, v29, v10
	v_add_f16_e32 v29, v32, v34
	v_sub_f16_e32 v30, v31, v33
	v_mul_f16_e32 v31, 0xb9fd, v29
	v_fma_f16 v32, v30, s18, v31
	v_fma_f16 v31, v30, s19, v31
	v_mul_f16_e32 v33, 0x2fb7, v29
	v_add_f16_e32 v31, v31, v35
	v_fma_f16 v34, v30, s15, v33
	v_fma_f16 v33, v30, s14, v33
	v_mul_f16_e32 v35, 0x388b, v29
	v_add_f16_e32 v32, v32, v36
	v_add_f16_e32 v33, v33, v37
	v_fma_f16 v36, v30, s8, v35
	v_fma_f16 v35, v30, s9, v35
	v_mul_f16_e32 v37, 0xbbc4, v29
	v_add_f16_e32 v34, v34, v38
	v_add_f16_e32 v35, v35, v39
	v_fma_f16 v38, v30, s21, v37
	v_fma_f16 v37, v30, s20, v37
	v_mul_f16_e32 v39, 0x3b15, v29
	v_mul_f16_e32 v29, 0xb5ac, v29
	v_add_f16_e32 v26, v26, v28
	v_add_f16_e32 v37, v37, v41
	v_fma_f16 v41, v30, s16, v29
	v_fma_f16 v29, v30, s17, v29
	v_sub_f16_e32 v25, v25, v27
	v_mul_f16_e32 v27, 0xbbc4, v26
	v_add_f16_e32 v10, v29, v10
	v_fma_f16 v28, v25, s20, v27
	v_fma_f16 v27, v25, s21, v27
	v_mul_f16_e32 v29, 0x3b15, v26
	v_add_f16_e32 v36, v36, v40
	v_fma_f16 v40, v30, s1, v39
	v_fma_f16 v39, v30, s0, v39
	v_add_f16_e32 v27, v27, v31
	v_fma_f16 v30, v25, s1, v29
	v_fma_f16 v29, v25, s0, v29
	v_mul_f16_e32 v31, 0xb9fd, v26
	v_add_f16_e32 v28, v28, v32
	v_add_f16_e32 v29, v29, v33
	v_fma_f16 v32, v25, s18, v31
	v_fma_f16 v31, v25, s19, v31
	v_mul_f16_e32 v33, 0x388b, v26
	v_add_f16_e32 v30, v30, v34
	v_add_f16_e32 v31, v31, v35
	v_fma_f16 v34, v25, s9, v33
	v_fma_f16 v33, v25, s8, v33
	v_mul_f16_e32 v35, 0xb5ac, v26
	v_mul_f16_e32 v26, 0x2fb7, v26
	v_add_f16_e32 v32, v32, v36
	v_add_f16_e32 v33, v33, v37
	v_fma_f16 v36, v25, s16, v35
	v_fma_f16 v35, v25, s17, v35
	v_fma_f16 v37, v25, s15, v26
	v_fma_f16 v25, v25, s14, v26
	v_add_f16_e32 v63, v63, v67
	v_add_f16_e32 v65, v65, v69
	;; [unrolled: 1-line block ×5, first 2 shown]
	v_mul_u32_u24_e32 v25, 52, v45
	v_add_f16_e32 v47, v47, v63
	v_add_f16_e32 v49, v49, v65
	v_add_f16_e32 v48, v48, v64
	v_add_f16_e32 v62, v62, v66
	v_or_b32_e32 v9, v25, v9
	v_add_f16_e32 v42, v42, v47
	v_add_f16_e32 v44, v44, v49
	;; [unrolled: 1-line block ×4, first 2 shown]
	v_lshlrev_b32_e32 v9, 1, v9
	v_add_f16_e32 v38, v38, v42
	v_add_f16_e32 v40, v40, v44
	;; [unrolled: 1-line block ×4, first 2 shown]
	v_add3_u32 v9, 0, v9, v23
	v_add_f16_e32 v34, v34, v38
	v_add_f16_e32 v36, v36, v40
	;; [unrolled: 1-line block ×4, first 2 shown]
	ds_write_b16 v9, v61
	ds_write_b16 v9, v28 offset:8
	ds_write_b16 v9, v30 offset:16
	;; [unrolled: 1-line block ×12, first 2 shown]
.LBB0_20:
	s_or_b64 exec, exec, s[6:7]
	v_subrev_u32_e32 v9, 52, v13
	v_cmp_gt_u32_e64 s[0:1], 52, v13
	v_cndmask_b32_e64 v9, v9, v13, s[0:1]
	v_mov_b32_e32 v10, 0
	v_lshlrev_b64 v[25:26], 2, v[9:10]
	v_mov_b32_e32 v28, s13
	v_add_co_u32_e64 v25, s[0:1], s12, v25
	v_addc_co_u32_e64 v26, s[0:1], v28, v26, s[0:1]
	s_movk_i32 s0, 0x4f
	v_mul_lo_u16_sdwa v27, v14, s0 dst_sel:DWORD dst_unused:UNUSED_PAD src0_sel:BYTE_0 src1_sel:DWORD
	v_mul_lo_u16_sdwa v32, v15, s0 dst_sel:DWORD dst_unused:UNUSED_PAD src0_sel:BYTE_0 src1_sel:DWORD
	s_movk_i32 s0, 0x4ec5
	v_mul_u32_u24_sdwa v39, v11, s0 dst_sel:DWORD dst_unused:UNUSED_PAD src0_sel:WORD_0 src1_sel:DWORD
	v_lshrrev_b32_e32 v39, 20, v39
	v_mul_lo_u16_e32 v40, 52, v39
	v_mul_u32_u24_sdwa v35, v16, s0 dst_sel:DWORD dst_unused:UNUSED_PAD src0_sel:WORD_0 src1_sel:DWORD
	v_sub_u16_e32 v11, v11, v40
	v_mul_u32_u24_sdwa v40, v12, s0 dst_sel:DWORD dst_unused:UNUSED_PAD src0_sel:WORD_0 src1_sel:DWORD
	v_lshrrev_b16_e32 v27, 12, v27
	v_lshrrev_b32_e32 v36, 20, v35
	v_lshrrev_b32_e32 v40, 20, v40
	v_mul_lo_u16_e32 v29, 52, v27
	v_lshrrev_b16_e32 v33, 12, v32
	v_mul_lo_u16_e32 v37, 52, v36
	v_mul_lo_u16_e32 v41, 52, v40
	v_sub_u16_e32 v29, v14, v29
	v_mov_b32_e32 v30, 2
	v_mul_lo_u16_e32 v34, 52, v33
	v_sub_u16_e32 v37, v16, v37
	v_sub_u16_e32 v12, v12, v41
	v_lshlrev_b32_sdwa v31, v30, v29 dst_sel:DWORD dst_unused:UNUSED_PAD src0_sel:DWORD src1_sel:BYTE_0
	v_sub_u16_e32 v34, v15, v34
	v_lshlrev_b32_e32 v38, 2, v37
	v_lshlrev_b32_e32 v41, 2, v12
	s_waitcnt lgkmcnt(0)
	s_barrier
	v_lshlrev_b32_sdwa v30, v30, v34 dst_sel:DWORD dst_unused:UNUSED_PAD src0_sel:DWORD src1_sel:BYTE_0
	global_load_dword v25, v[25:26], off offset:200
	v_cmp_lt_u32_e64 s[0:1], 51, v13
	global_load_dword v41, v41, s[12:13] offset:200
	v_lshlrev_b32_e32 v26, 2, v11
	global_load_dword v31, v31, s[12:13] offset:200
	v_lshlrev_b32_e32 v9, 1, v9
	global_load_dword v38, v38, s[12:13] offset:200
	s_movk_i32 s6, 0xd0
	global_load_dword v30, v30, s[12:13] offset:200
	v_mad_u32_u24 v27, v27, s6, 0
	global_load_dword v26, v26, s[12:13] offset:200
	ds_read_u16 v42, v0
	ds_read_u16 v43, v17 offset:936
	ds_read_u16 v44, v17 offset:1092
	;; [unrolled: 1-line block ×5, first 2 shown]
	ds_read_u16 v48, v19
	ds_read_u16 v49, v20
	;; [unrolled: 1-line block ×5, first 2 shown]
	ds_read_u16 v64, v17 offset:1716
	s_waitcnt vmcnt(0) lgkmcnt(0)
	s_barrier
	v_lshlrev_b32_e32 v11, 1, v11
	v_lshlrev_b32_e32 v12, 1, v12
	s_movk_i32 s7, 0x3aee
	s_movk_i32 s8, 0x270
	v_mul_f16_sdwa v65, v43, v25 dst_sel:DWORD dst_unused:UNUSED_PAD src0_sel:DWORD src1_sel:WORD_1
	v_mul_f16_sdwa v66, v60, v25 dst_sel:DWORD dst_unused:UNUSED_PAD src0_sel:DWORD src1_sel:WORD_1
	v_fma_f16 v60, v60, v25, v65
	v_fma_f16 v25, v43, v25, -v66
	v_mul_f16_sdwa v43, v44, v31 dst_sel:DWORD dst_unused:UNUSED_PAD src0_sel:DWORD src1_sel:WORD_1
	v_mul_f16_sdwa v65, v55, v31 dst_sel:DWORD dst_unused:UNUSED_PAD src0_sel:DWORD src1_sel:WORD_1
	;; [unrolled: 1-line block ×10, first 2 shown]
	v_fma_f16 v43, v55, v31, v43
	v_fma_f16 v31, v44, v31, -v65
	v_fma_f16 v44, v56, v30, v66
	v_fma_f16 v30, v45, v30, -v67
	;; [unrolled: 2-line block ×4, first 2 shown]
	v_fma_f16 v47, v59, v41, v72
	v_mov_b32_e32 v59, 0xd0
	v_cndmask_b32_e64 v59, 0, v59, s[0:1]
	v_sub_f16_e32 v55, v52, v60
	v_add_u32_e32 v59, 0, v59
	v_fma_f16 v52, v52, 2.0, -v55
	v_add3_u32 v9, v59, v9, v23
	ds_write_b16 v9, v52
	ds_write_b16 v9, v55 offset:104
	v_mov_b32_e32 v52, 1
	v_lshlrev_b32_sdwa v29, v52, v29 dst_sel:DWORD dst_unused:UNUSED_PAD src0_sel:DWORD src1_sel:BYTE_0
	v_add3_u32 v27, v27, v29, v23
	v_mad_u32_u24 v29, v33, s6, 0
	v_lshlrev_b32_sdwa v33, v52, v34 dst_sel:DWORD dst_unused:UNUSED_PAD src0_sel:DWORD src1_sel:BYTE_0
	v_add3_u32 v29, v29, v33, v23
	v_mad_u32_u24 v33, v36, s6, 0
	v_lshlrev_b32_e32 v34, 1, v37
	v_add3_u32 v33, v33, v34, v23
	v_mad_u32_u24 v34, v39, s6, 0
	v_fma_f16 v41, v64, v41, -v73
	v_sub_f16_e32 v25, v42, v25
	v_sub_f16_e32 v43, v54, v43
	;; [unrolled: 1-line block ×6, first 2 shown]
	v_add3_u32 v11, v34, v11, v23
	v_mad_u32_u24 v34, v40, s6, 0
	v_fma_f16 v42, v42, 2.0, -v25
	v_sub_f16_e32 v31, v63, v31
	v_fma_f16 v54, v54, 2.0, -v43
	v_sub_f16_e32 v30, v48, v30
	v_fma_f16 v53, v53, 2.0, -v44
	v_sub_f16_e32 v38, v49, v38
	v_fma_f16 v51, v51, 2.0, -v45
	v_sub_f16_e32 v26, v61, v26
	v_fma_f16 v50, v50, 2.0, -v46
	v_sub_f16_e32 v41, v62, v41
	v_fma_f16 v24, v24, 2.0, -v47
	v_add3_u32 v12, v34, v12, v23
	v_fma_f16 v56, v63, 2.0, -v31
	v_fma_f16 v48, v48, 2.0, -v30
	;; [unrolled: 1-line block ×5, first 2 shown]
	ds_write_b16 v27, v54
	ds_write_b16 v27, v43 offset:104
	ds_write_b16 v29, v53
	ds_write_b16 v29, v44 offset:104
	ds_write_b16 v33, v51
	ds_write_b16 v33, v45 offset:104
	ds_write_b16 v11, v50
	ds_write_b16 v11, v46 offset:104
	ds_write_b16 v12, v24
	ds_write_b16 v12, v47 offset:104
	s_waitcnt lgkmcnt(0)
	s_barrier
	ds_read_u16 v34, v22
	ds_read_u16 v36, v19
	;; [unrolled: 1-line block ×3, first 2 shown]
	ds_read_u16 v39, v17 offset:936
	ds_read_u16 v40, v17 offset:1404
	;; [unrolled: 1-line block ×3, first 2 shown]
	ds_read_u16 v44, v21
	ds_read_u16 v45, v20
	;; [unrolled: 1-line block ×3, first 2 shown]
	ds_read_u16 v47, v17 offset:1716
	ds_read_u16 v50, v17 offset:1248
	;; [unrolled: 1-line block ×3, first 2 shown]
	s_waitcnt lgkmcnt(0)
	s_barrier
	ds_write_b16 v9, v42
	ds_write_b16 v9, v25 offset:104
	ds_write_b16 v27, v56
	ds_write_b16 v27, v31 offset:104
	ds_write_b16 v29, v48
	ds_write_b16 v29, v30 offset:104
	ds_write_b16 v33, v49
	ds_write_b16 v33, v38 offset:104
	ds_write_b16 v11, v57
	ds_write_b16 v11, v26 offset:104
	ds_write_b16 v12, v58
	ds_write_b16 v12, v41 offset:104
	v_mov_b32_e32 v9, v10
	v_lshlrev_b64 v[8:9], 2, v[8:9]
	s_waitcnt lgkmcnt(0)
	v_add_co_u32_e64 v11, s[0:1], s12, v8
	v_addc_co_u32_e64 v12, s[0:1], v28, v9, s[0:1]
	v_subrev_u32_e32 v8, 26, v13
	v_cmp_gt_u32_e64 s[0:1], 26, v13
	v_cndmask_b32_e64 v8, v8, v14, s[0:1]
	v_lshlrev_b32_e32 v9, 1, v8
	v_lshlrev_b64 v[26:27], 2, v[9:10]
	s_barrier
	global_load_dwordx2 v[24:25], v[11:12], off offset:408
	v_add_co_u32_e64 v26, s[0:1], s12, v26
	v_addc_co_u32_e64 v27, s[0:1], v28, v27, s[0:1]
	global_load_dwordx2 v[26:27], v[26:27], off offset:408
	v_lshrrev_b16_e32 v8, 13, v32
	v_mul_lo_u16_e32 v14, 0x68, v8
	v_sub_u16_e32 v30, v15, v14
	v_mov_b32_e32 v14, 3
	v_lshrrev_b32_e32 v28, 21, v35
	v_lshlrev_b32_sdwa v14, v14, v30 dst_sel:DWORD dst_unused:UNUSED_PAD src0_sel:DWORD src1_sel:BYTE_0
	v_mul_lo_u16_e32 v28, 0x68, v28
	global_load_dwordx2 v[14:15], v14, s[12:13] offset:408
	v_sub_u16_e32 v16, v16, v28
	v_lshlrev_b32_e32 v28, 3, v16
	global_load_dwordx2 v[28:29], v28, s[12:13] offset:408
	ds_read_u16 v31, v22
	ds_read_u16 v32, v19
	;; [unrolled: 1-line block ×3, first 2 shown]
	ds_read_u16 v35, v17 offset:936
	ds_read_u16 v38, v17 offset:1404
	;; [unrolled: 1-line block ×3, first 2 shown]
	ds_read_u16 v42, v21
	ds_read_u16 v48, v20
	;; [unrolled: 1-line block ×3, first 2 shown]
	ds_read_u16 v53, v17 offset:1716
	ds_read_u16 v54, v17 offset:1248
	;; [unrolled: 1-line block ×3, first 2 shown]
	s_mov_b32 s6, 0xbaee
	v_cmp_lt_u32_e64 s[0:1], 25, v13
	v_lshlrev_b32_sdwa v30, v52, v30 dst_sel:DWORD dst_unused:UNUSED_PAD src0_sel:DWORD src1_sel:BYTE_0
	v_lshlrev_b32_e32 v16, 1, v16
	v_mad_u32_u24 v8, v8, s8, 0
	s_waitcnt vmcnt(0) lgkmcnt(0)
	s_barrier
	v_add3_u32 v8, v8, v30, v23
	v_mul_f16_sdwa v56, v42, v24 dst_sel:DWORD dst_unused:UNUSED_PAD src0_sel:DWORD src1_sel:WORD_1
	v_fma_f16 v56, v44, v24, v56
	v_mul_f16_sdwa v44, v44, v24 dst_sel:DWORD dst_unused:UNUSED_PAD src0_sel:DWORD src1_sel:WORD_1
	v_fma_f16 v24, v42, v24, -v44
	v_mul_f16_sdwa v42, v54, v25 dst_sel:DWORD dst_unused:UNUSED_PAD src0_sel:DWORD src1_sel:WORD_1
	v_mul_f16_sdwa v44, v50, v25 dst_sel:DWORD dst_unused:UNUSED_PAD src0_sel:DWORD src1_sel:WORD_1
	v_fma_f16 v42, v50, v25, v42
	v_fma_f16 v25, v54, v25, -v44
	v_mul_f16_sdwa v44, v31, v26 dst_sel:DWORD dst_unused:UNUSED_PAD src0_sel:DWORD src1_sel:WORD_1
	v_fma_f16 v44, v34, v26, v44
	v_mul_f16_sdwa v34, v34, v26 dst_sel:DWORD dst_unused:UNUSED_PAD src0_sel:DWORD src1_sel:WORD_1
	v_fma_f16 v26, v31, v26, -v34
	v_mul_f16_sdwa v31, v38, v27 dst_sel:DWORD dst_unused:UNUSED_PAD src0_sel:DWORD src1_sel:WORD_1
	v_mul_f16_sdwa v34, v40, v27 dst_sel:DWORD dst_unused:UNUSED_PAD src0_sel:DWORD src1_sel:WORD_1
	v_fma_f16 v31, v40, v27, v31
	v_fma_f16 v27, v38, v27, -v34
	v_mul_f16_sdwa v34, v35, v14 dst_sel:DWORD dst_unused:UNUSED_PAD src0_sel:DWORD src1_sel:WORD_1
	v_mul_f16_sdwa v38, v39, v14 dst_sel:DWORD dst_unused:UNUSED_PAD src0_sel:DWORD src1_sel:WORD_1
	v_fma_f16 v34, v39, v14, v34
	;; [unrolled: 4-line block ×4, first 2 shown]
	v_fma_f16 v28, v55, v28, -v39
	v_mul_f16_sdwa v39, v53, v29 dst_sel:DWORD dst_unused:UNUSED_PAD src0_sel:DWORD src1_sel:WORD_1
	v_mul_f16_sdwa v40, v47, v29 dst_sel:DWORD dst_unused:UNUSED_PAD src0_sel:DWORD src1_sel:WORD_1
	v_add_f16_e32 v41, v56, v42
	v_fma_f16 v39, v47, v29, v39
	v_fma_f16 v29, v53, v29, -v40
	v_add_f16_e32 v40, v37, v56
	v_fma_f16 v37, v41, -0.5, v37
	v_sub_f16_e32 v41, v24, v25
	v_fma_f16 v43, v41, s6, v37
	v_fma_f16 v37, v41, s7, v37
	v_add_f16_e32 v41, v33, v24
	v_add_f16_e32 v24, v24, v25
	;; [unrolled: 1-line block ×3, first 2 shown]
	v_fma_f16 v24, v24, -0.5, v33
	v_sub_f16_e32 v25, v56, v42
	v_add_f16_e32 v40, v40, v42
	v_fma_f16 v33, v25, s7, v24
	v_fma_f16 v42, v25, s6, v24
	v_add_f16_e32 v25, v44, v31
	v_add_f16_e32 v24, v46, v44
	v_fma_f16 v25, v25, -0.5, v46
	v_sub_f16_e32 v46, v26, v27
	v_fma_f16 v47, v46, s6, v25
	v_fma_f16 v25, v46, s7, v25
	v_add_f16_e32 v46, v49, v26
	v_add_f16_e32 v26, v26, v27
	;; [unrolled: 1-line block ×3, first 2 shown]
	v_fma_f16 v26, v26, -0.5, v49
	v_sub_f16_e32 v27, v44, v31
	v_add_f16_e32 v24, v24, v31
	v_fma_f16 v31, v27, s7, v26
	v_fma_f16 v44, v27, s6, v26
	v_add_f16_e32 v27, v34, v35
	v_add_f16_e32 v26, v36, v34
	v_fma_f16 v27, v27, -0.5, v36
	v_sub_f16_e32 v36, v14, v15
	v_fma_f16 v49, v36, s6, v27
	v_fma_f16 v27, v36, s7, v27
	v_add_f16_e32 v36, v32, v14
	v_add_f16_e32 v14, v14, v15
	;; [unrolled: 1-line block ×3, first 2 shown]
	v_fma_f16 v14, v14, -0.5, v32
	v_sub_f16_e32 v15, v34, v35
	v_fma_f16 v32, v15, s7, v14
	v_fma_f16 v34, v15, s6, v14
	v_add_f16_e32 v15, v38, v39
	v_add_f16_e32 v26, v26, v35
	v_fma_f16 v15, v15, -0.5, v45
	v_sub_f16_e32 v35, v28, v29
	v_add_f16_e32 v14, v45, v38
	v_fma_f16 v45, v35, s6, v15
	v_fma_f16 v15, v35, s7, v15
	v_add_f16_e32 v35, v48, v28
	v_add_f16_e32 v28, v28, v29
	;; [unrolled: 1-line block ×3, first 2 shown]
	v_fma_f16 v28, v28, -0.5, v48
	v_sub_f16_e32 v29, v38, v39
	v_add_f16_e32 v14, v14, v39
	v_fma_f16 v38, v29, s7, v28
	v_fma_f16 v39, v29, s6, v28
	v_mov_b32_e32 v28, 0x270
	v_cndmask_b32_e64 v28, 0, v28, s[0:1]
	v_add_u32_e32 v28, 0, v28
	ds_write_b16 v17, v40
	ds_write_b16 v17, v43 offset:208
	ds_write_b16 v17, v37 offset:416
	v_add3_u32 v37, v28, v9, v23
	v_add3_u32 v40, 0, v16, v23
	ds_write_b16 v37, v24
	ds_write_b16 v37, v47 offset:208
	ds_write_b16 v37, v25 offset:416
	ds_write_b16 v8, v26
	ds_write_b16 v8, v49 offset:208
	ds_write_b16 v8, v27 offset:416
	;; [unrolled: 1-line block ×5, first 2 shown]
	s_waitcnt lgkmcnt(0)
	s_barrier
	ds_read_u16 v23, v22
	ds_read_u16 v25, v19
	;; [unrolled: 1-line block ×3, first 2 shown]
	ds_read_u16 v27, v17 offset:936
	ds_read_u16 v24, v17 offset:1404
	;; [unrolled: 1-line block ×3, first 2 shown]
	ds_read_u16 v14, v21
	ds_read_u16 v26, v20
	;; [unrolled: 1-line block ×3, first 2 shown]
	ds_read_u16 v29, v17 offset:1716
	ds_read_u16 v15, v17 offset:1248
	;; [unrolled: 1-line block ×3, first 2 shown]
	s_waitcnt lgkmcnt(0)
	s_barrier
	ds_write_b16 v17, v41
	ds_write_b16 v17, v33 offset:208
	ds_write_b16 v17, v42 offset:416
	ds_write_b16 v37, v46
	ds_write_b16 v37, v31 offset:208
	ds_write_b16 v37, v44 offset:416
	;; [unrolled: 3-line block ×3, first 2 shown]
	ds_write_b16 v40, v35 offset:1248
	ds_write_b16 v40, v38 offset:1456
	;; [unrolled: 1-line block ×3, first 2 shown]
	s_waitcnt lgkmcnt(0)
	s_barrier
	s_and_saveexec_b64 s[0:1], vcc
	s_cbranch_execz .LBB0_22
; %bb.21:
	v_mov_b32_e32 v8, v10
	v_lshlrev_b64 v[7:8], 2, v[7:8]
	v_mov_b32_e32 v37, s13
	v_add_co_u32_e32 v31, vcc, s12, v7
	v_mov_b32_e32 v7, v10
	v_lshlrev_b64 v[6:7], 2, v[6:7]
	v_addc_co_u32_e32 v32, vcc, v37, v8, vcc
	v_add_co_u32_e32 v6, vcc, s12, v6
	v_addc_co_u32_e32 v7, vcc, v37, v7, vcc
	global_load_dwordx2 v[33:34], v[31:32], off offset:1240
	global_load_dwordx2 v[35:36], v[6:7], off offset:1240
	v_mov_b32_e32 v6, v10
	v_lshlrev_b64 v[5:6], 2, v[5:6]
	global_load_dwordx2 v[7:8], v[11:12], off offset:1240
	v_add_co_u32_e32 v5, vcc, s12, v5
	v_addc_co_u32_e32 v6, vcc, v37, v6, vcc
	global_load_dwordx2 v[5:6], v[5:6], off offset:1240
	v_mul_lo_u32 v10, s5, v3
	v_mul_lo_u32 v31, s4, v4
	v_mad_u64_u32 v[3:4], s[0:1], s4, v3, 0
	ds_read_u16 v11, v22
	ds_read_u16 v12, v21
	;; [unrolled: 1-line block ×5, first 2 shown]
	ds_read_u16 v21, v17 offset:1716
	ds_read_u16 v22, v17 offset:1560
	;; [unrolled: 1-line block ×6, first 2 shown]
	ds_read_u16 v0, v0
	s_mov_b32 s4, 0x1a41a41b
	v_add3_u32 v4, v4, v31, v10
	v_lshlrev_b64 v[3:4], 2, v[3:4]
	s_movk_i32 s5, 0x3a8
	s_waitcnt vmcnt(3)
	v_mul_f16_sdwa v31, v29, v34 dst_sel:DWORD dst_unused:UNUSED_PAD src0_sel:DWORD src1_sel:WORD_1
	s_waitcnt lgkmcnt(6)
	v_mul_f16_sdwa v40, v21, v34 dst_sel:DWORD dst_unused:UNUSED_PAD src0_sel:DWORD src1_sel:WORD_1
	v_fma_f16 v21, v21, v34, -v31
	v_mul_f16_sdwa v10, v30, v33 dst_sel:DWORD dst_unused:UNUSED_PAD src0_sel:DWORD src1_sel:WORD_1
	s_waitcnt lgkmcnt(2)
	v_mul_f16_sdwa v39, v38, v33 dst_sel:DWORD dst_unused:UNUSED_PAD src0_sel:DWORD src1_sel:WORD_1
	v_fma_f16 v10, v38, v33, -v10
	v_fma_f16 v30, v30, v33, v39
	s_waitcnt vmcnt(2)
	v_mul_f16_sdwa v41, v27, v35 dst_sel:DWORD dst_unused:UNUSED_PAD src0_sel:DWORD src1_sel:WORD_1
	v_mul_f16_sdwa v42, v28, v36 dst_sel:DWORD dst_unused:UNUSED_PAD src0_sel:DWORD src1_sel:WORD_1
	s_waitcnt vmcnt(0)
	v_mul_f16_sdwa v45, v23, v5 dst_sel:DWORD dst_unused:UNUSED_PAD src0_sel:DWORD src1_sel:WORD_1
	v_fma_f16 v31, v11, v5, -v45
	v_mul_f16_sdwa v11, v11, v5 dst_sel:DWORD dst_unused:UNUSED_PAD src0_sel:DWORD src1_sel:WORD_1
	v_mul_f16_sdwa v46, v24, v6 dst_sel:DWORD dst_unused:UNUSED_PAD src0_sel:DWORD src1_sel:WORD_1
	v_fma_f16 v5, v23, v5, v11
	v_mul_f16_sdwa v11, v32, v6 dst_sel:DWORD dst_unused:UNUSED_PAD src0_sel:DWORD src1_sel:WORD_1
	v_fma_f16 v33, v32, v6, -v46
	v_fma_f16 v6, v24, v6, v11
	s_waitcnt lgkmcnt(1)
	v_mul_f16_sdwa v43, v17, v35 dst_sel:DWORD dst_unused:UNUSED_PAD src0_sel:DWORD src1_sel:WORD_1
	v_mul_f16_sdwa v44, v22, v36 dst_sel:DWORD dst_unused:UNUSED_PAD src0_sel:DWORD src1_sel:WORD_1
	v_sub_f16_e32 v11, v5, v6
	v_add_f16_e32 v24, v5, v6
	v_add_f16_e32 v5, v16, v5
	v_fma_f16 v29, v29, v34, v40
	v_fma_f16 v17, v17, v35, -v41
	v_fma_f16 v22, v22, v36, -v42
	v_fma_f16 v27, v27, v35, v43
	v_fma_f16 v28, v28, v36, v44
	v_add_f16_e32 v34, v10, v21
	v_add_f16_e32 v43, v31, v33
	v_fma_f16 v24, v24, -0.5, v16
	v_add_f16_e32 v16, v5, v6
	v_mul_f16_sdwa v5, v14, v7 dst_sel:DWORD dst_unused:UNUSED_PAD src0_sel:DWORD src1_sel:WORD_1
	v_sub_f16_e32 v35, v30, v29
	v_sub_f16_e32 v38, v10, v21
	v_add_f16_e32 v10, v20, v10
	v_add_f16_e32 v39, v17, v22
	v_sub_f16_e32 v40, v27, v28
	v_add_f16_e32 v41, v27, v28
	v_sub_f16_e32 v42, v17, v22
	v_add_f16_e32 v17, v19, v17
	v_add_f16_e32 v27, v25, v27
	v_fma_f16 v20, v34, -0.5, v20
	v_fma_f16 v34, v43, -0.5, v18
	v_sub_f16_e32 v32, v31, v33
	v_add_f16_e32 v18, v18, v31
	v_fma_f16 v31, v12, v7, -v5
	v_mul_f16_sdwa v5, v15, v8 dst_sel:DWORD dst_unused:UNUSED_PAD src0_sel:DWORD src1_sel:WORD_1
	v_add_f16_e32 v17, v17, v22
	v_add_f16_e32 v22, v27, v28
	v_fma_f16 v27, v35, s6, v20
	v_fma_f16 v20, v35, s7, v20
	;; [unrolled: 1-line block ×4, first 2 shown]
	v_fma_f16 v32, v37, v8, -v5
	v_add_f16_e32 v5, v31, v32
	v_lshrrev_b32_e32 v6, 3, v13
	v_add_f16_e32 v18, v18, v33
	s_waitcnt lgkmcnt(0)
	v_fma_f16 v33, v5, -0.5, v0
	v_mul_f16_sdwa v5, v12, v7 dst_sel:DWORD dst_unused:UNUSED_PAD src0_sel:DWORD src1_sel:WORD_1
	v_mul_hi_u32 v6, v6, s4
	v_fma_f16 v12, v14, v7, v5
	v_mul_f16_sdwa v5, v37, v8 dst_sel:DWORD dst_unused:UNUSED_PAD src0_sel:DWORD src1_sel:WORD_1
	v_fma_f16 v8, v15, v8, v5
	v_add_f16_e32 v5, v12, v8
	v_fma_f16 v15, v5, -0.5, v9
	v_lshrrev_b32_e32 v5, 2, v6
	v_mul_u32_u24_e32 v5, 0x138, v5
	v_sub_u32_e32 v37, v13, v5
	v_mad_u64_u32 v[5:6], s[0:1], s2, v37, 0
	v_fma_f16 v23, v11, s6, v34
	v_fma_f16 v11, v11, s7, v34
	v_sub_f16_e32 v7, v12, v8
	v_sub_f16_e32 v34, v31, v32
	v_add_f16_e32 v31, v0, v31
	v_mov_b32_e32 v0, v6
	v_fma_f16 v14, v7, s6, v33
	v_fma_f16 v33, v7, s7, v33
	v_mad_u64_u32 v[6:7], s[0:1], s3, v37, v[0:1]
	v_add_f16_e32 v0, v9, v12
	v_add_f16_e32 v8, v0, v8
	v_mov_b32_e32 v0, s11
	v_add_co_u32_e32 v9, vcc, s10, v3
	v_add_u32_e32 v12, 0x138, v37
	v_addc_co_u32_e32 v4, vcc, v0, v4, vcc
	v_lshlrev_b64 v[0:1], 2, v[1:2]
	v_mad_u64_u32 v[2:3], s[0:1], s2, v12, 0
	v_add_co_u32_e32 v9, vcc, v9, v0
	v_add_f16_e32 v7, v31, v32
	v_addc_co_u32_e32 v31, vcc, v4, v1, vcc
	v_lshlrev_b64 v[0:1], 2, v[5:6]
	v_mad_u64_u32 v[3:4], s[0:1], s3, v12, v[3:4]
	v_add_co_u32_e32 v0, vcc, v9, v0
	v_addc_co_u32_e32 v1, vcc, v31, v1, vcc
	v_pack_b32_f16 v4, v8, v7
	global_store_dword v[0:1], v4, off
	v_add_u32_e32 v4, 0x270, v37
	v_lshlrev_b64 v[0:1], 2, v[2:3]
	v_mad_u64_u32 v[2:3], s[0:1], s2, v4, 0
	v_add_f16_e32 v36, v30, v29
	v_add_f16_e32 v30, v26, v30
	v_mad_u64_u32 v[3:4], s[0:1], s3, v4, v[3:4]
	v_add_u32_e32 v4, 0x4e, v13
	v_lshrrev_b32_e32 v6, 3, v4
	v_mul_hi_u32 v6, v6, s4
	v_fma_f16 v26, v36, -0.5, v26
	v_fma_f16 v36, v34, s7, v15
	v_fma_f16 v15, v34, s6, v15
	v_add_co_u32_e32 v0, vcc, v9, v0
	v_addc_co_u32_e32 v1, vcc, v31, v1, vcc
	v_pack_b32_f16 v5, v15, v33
	global_store_dword v[0:1], v5, off
	v_lshlrev_b64 v[0:1], 2, v[2:3]
	v_lshrrev_b32_e32 v2, 2, v6
	v_mul_u32_u24_e32 v3, 0x138, v2
	v_sub_u32_e32 v3, v4, v3
	v_mad_u32_u24 v6, v2, s5, v3
	v_mad_u64_u32 v[2:3], s[0:1], s2, v6, 0
	v_add_u32_e32 v8, 0x138, v6
	v_add_co_u32_e32 v0, vcc, v9, v0
	v_mad_u64_u32 v[3:4], s[0:1], s3, v6, v[3:4]
	v_mad_u64_u32 v[4:5], s[0:1], s2, v8, 0
	v_addc_co_u32_e32 v1, vcc, v31, v1, vcc
	v_pack_b32_f16 v7, v36, v14
	global_store_dword v[0:1], v7, off
	v_lshlrev_b64 v[0:1], 2, v[2:3]
	v_mov_b32_e32 v2, v5
	v_mad_u64_u32 v[2:3], s[0:1], s3, v8, v[2:3]
	v_add_co_u32_e32 v0, vcc, v9, v0
	v_addc_co_u32_e32 v1, vcc, v31, v1, vcc
	v_pack_b32_f16 v3, v16, v18
	v_mov_b32_e32 v5, v2
	global_store_dword v[0:1], v3, off
	v_lshlrev_b64 v[0:1], 2, v[4:5]
	v_add_u32_e32 v4, 0x270, v6
	v_mad_u64_u32 v[2:3], s[0:1], s2, v4, 0
	v_add_co_u32_e32 v0, vcc, v9, v0
	v_mad_u64_u32 v[3:4], s[0:1], s3, v4, v[3:4]
	v_add_u32_e32 v4, 0x9c, v13
	v_lshrrev_b32_e32 v6, 3, v4
	v_mul_hi_u32 v6, v6, s4
	v_addc_co_u32_e32 v1, vcc, v31, v1, vcc
	v_pack_b32_f16 v5, v24, v11
	global_store_dword v[0:1], v5, off
	v_lshlrev_b64 v[0:1], 2, v[2:3]
	v_lshrrev_b32_e32 v2, 2, v6
	v_mul_u32_u24_e32 v3, 0x138, v2
	v_sub_u32_e32 v3, v4, v3
	v_mad_u32_u24 v6, v2, s5, v3
	v_mad_u64_u32 v[2:3], s[0:1], s2, v6, 0
	v_add_u32_e32 v8, 0x138, v6
	v_add_co_u32_e32 v0, vcc, v9, v0
	v_mad_u64_u32 v[3:4], s[0:1], s3, v6, v[3:4]
	v_mad_u64_u32 v[4:5], s[0:1], s2, v8, 0
	v_addc_co_u32_e32 v1, vcc, v31, v1, vcc
	v_pack_b32_f16 v7, v35, v23
	global_store_dword v[0:1], v7, off
	v_lshlrev_b64 v[0:1], 2, v[2:3]
	v_mov_b32_e32 v2, v5
	v_mad_u64_u32 v[2:3], s[0:1], s3, v8, v[2:3]
	v_add_co_u32_e32 v0, vcc, v9, v0
	v_addc_co_u32_e32 v1, vcc, v31, v1, vcc
	v_pack_b32_f16 v3, v22, v17
	v_mov_b32_e32 v5, v2
	global_store_dword v[0:1], v3, off
	v_lshlrev_b64 v[0:1], 2, v[4:5]
	v_add_u32_e32 v4, 0x270, v6
	v_add_u32_e32 v5, 0xea, v13
	v_mad_u64_u32 v[2:3], s[0:1], s2, v4, 0
	v_lshrrev_b32_e32 v6, 3, v5
	v_mul_hi_u32 v6, v6, s4
	v_mad_u64_u32 v[3:4], s[0:1], s3, v4, v[3:4]
	v_fma_f16 v19, v39, -0.5, v19
	v_lshrrev_b32_e32 v4, 2, v6
	v_mul_u32_u24_e32 v6, 0x138, v4
	v_sub_u32_e32 v5, v5, v6
	v_mad_u32_u24 v6, v4, s5, v5
	v_mad_u64_u32 v[4:5], s[0:1], s2, v6, 0
	v_fma_f16 v25, v41, -0.5, v25
	v_add_f16_e32 v10, v10, v21
	v_add_f16_e32 v21, v30, v29
	v_fma_f16 v29, v40, s6, v19
	v_fma_f16 v30, v42, s7, v25
	;; [unrolled: 1-line block ×4, first 2 shown]
	v_add_co_u32_e32 v0, vcc, v9, v0
	v_addc_co_u32_e32 v1, vcc, v31, v1, vcc
	v_pack_b32_f16 v7, v25, v19
	global_store_dword v[0:1], v7, off
	v_lshlrev_b64 v[0:1], 2, v[2:3]
	v_mov_b32_e32 v2, v5
	v_mad_u64_u32 v[2:3], s[0:1], s3, v6, v[2:3]
	v_add_co_u32_e32 v0, vcc, v9, v0
	v_addc_co_u32_e32 v1, vcc, v31, v1, vcc
	v_pack_b32_f16 v3, v30, v29
	v_mov_b32_e32 v5, v2
	global_store_dword v[0:1], v3, off
	v_lshlrev_b64 v[0:1], 2, v[4:5]
	v_add_u32_e32 v4, 0x138, v6
	v_mad_u64_u32 v[2:3], s[0:1], s2, v4, 0
	v_add_u32_e32 v6, 0x270, v6
	v_add_co_u32_e32 v0, vcc, v9, v0
	v_mad_u64_u32 v[3:4], s[0:1], s3, v4, v[3:4]
	v_mad_u64_u32 v[4:5], s[0:1], s2, v6, 0
	v_addc_co_u32_e32 v1, vcc, v31, v1, vcc
	v_pack_b32_f16 v7, v21, v10
	global_store_dword v[0:1], v7, off
	v_lshlrev_b64 v[0:1], 2, v[2:3]
	v_mov_b32_e32 v2, v5
	v_mad_u64_u32 v[2:3], s[0:1], s3, v6, v[2:3]
	v_fma_f16 v28, v38, s7, v26
	v_fma_f16 v26, v38, s6, v26
	v_add_co_u32_e32 v0, vcc, v9, v0
	v_addc_co_u32_e32 v1, vcc, v31, v1, vcc
	v_pack_b32_f16 v3, v26, v20
	v_mov_b32_e32 v5, v2
	global_store_dword v[0:1], v3, off
	v_lshlrev_b64 v[0:1], 2, v[4:5]
	v_pack_b32_f16 v2, v28, v27
	v_add_co_u32_e32 v0, vcc, v9, v0
	v_addc_co_u32_e32 v1, vcc, v31, v1, vcc
	global_store_dword v[0:1], v2, off
.LBB0_22:
	s_endpgm
	.section	.rodata,"a",@progbits
	.p2align	6, 0x0
	.amdhsa_kernel fft_rtc_back_len936_factors_2_2_13_2_3_3_wgs_234_tpt_78_halfLds_half_op_CI_CI_sbrr_dirReg
		.amdhsa_group_segment_fixed_size 0
		.amdhsa_private_segment_fixed_size 0
		.amdhsa_kernarg_size 104
		.amdhsa_user_sgpr_count 6
		.amdhsa_user_sgpr_private_segment_buffer 1
		.amdhsa_user_sgpr_dispatch_ptr 0
		.amdhsa_user_sgpr_queue_ptr 0
		.amdhsa_user_sgpr_kernarg_segment_ptr 1
		.amdhsa_user_sgpr_dispatch_id 0
		.amdhsa_user_sgpr_flat_scratch_init 0
		.amdhsa_user_sgpr_private_segment_size 0
		.amdhsa_uses_dynamic_stack 0
		.amdhsa_system_sgpr_private_segment_wavefront_offset 0
		.amdhsa_system_sgpr_workgroup_id_x 1
		.amdhsa_system_sgpr_workgroup_id_y 0
		.amdhsa_system_sgpr_workgroup_id_z 0
		.amdhsa_system_sgpr_workgroup_info 0
		.amdhsa_system_vgpr_workitem_id 0
		.amdhsa_next_free_vgpr 78
		.amdhsa_next_free_sgpr 32
		.amdhsa_reserve_vcc 1
		.amdhsa_reserve_flat_scratch 0
		.amdhsa_float_round_mode_32 0
		.amdhsa_float_round_mode_16_64 0
		.amdhsa_float_denorm_mode_32 3
		.amdhsa_float_denorm_mode_16_64 3
		.amdhsa_dx10_clamp 1
		.amdhsa_ieee_mode 1
		.amdhsa_fp16_overflow 0
		.amdhsa_exception_fp_ieee_invalid_op 0
		.amdhsa_exception_fp_denorm_src 0
		.amdhsa_exception_fp_ieee_div_zero 0
		.amdhsa_exception_fp_ieee_overflow 0
		.amdhsa_exception_fp_ieee_underflow 0
		.amdhsa_exception_fp_ieee_inexact 0
		.amdhsa_exception_int_div_zero 0
	.end_amdhsa_kernel
	.text
.Lfunc_end0:
	.size	fft_rtc_back_len936_factors_2_2_13_2_3_3_wgs_234_tpt_78_halfLds_half_op_CI_CI_sbrr_dirReg, .Lfunc_end0-fft_rtc_back_len936_factors_2_2_13_2_3_3_wgs_234_tpt_78_halfLds_half_op_CI_CI_sbrr_dirReg
                                        ; -- End function
	.section	.AMDGPU.csdata,"",@progbits
; Kernel info:
; codeLenInByte = 11460
; NumSgprs: 36
; NumVgprs: 78
; ScratchSize: 0
; MemoryBound: 0
; FloatMode: 240
; IeeeMode: 1
; LDSByteSize: 0 bytes/workgroup (compile time only)
; SGPRBlocks: 4
; VGPRBlocks: 19
; NumSGPRsForWavesPerEU: 36
; NumVGPRsForWavesPerEU: 78
; Occupancy: 3
; WaveLimiterHint : 1
; COMPUTE_PGM_RSRC2:SCRATCH_EN: 0
; COMPUTE_PGM_RSRC2:USER_SGPR: 6
; COMPUTE_PGM_RSRC2:TRAP_HANDLER: 0
; COMPUTE_PGM_RSRC2:TGID_X_EN: 1
; COMPUTE_PGM_RSRC2:TGID_Y_EN: 0
; COMPUTE_PGM_RSRC2:TGID_Z_EN: 0
; COMPUTE_PGM_RSRC2:TIDIG_COMP_CNT: 0
	.type	__hip_cuid_a17f6a52034ab023,@object ; @__hip_cuid_a17f6a52034ab023
	.section	.bss,"aw",@nobits
	.globl	__hip_cuid_a17f6a52034ab023
__hip_cuid_a17f6a52034ab023:
	.byte	0                               ; 0x0
	.size	__hip_cuid_a17f6a52034ab023, 1

	.ident	"AMD clang version 19.0.0git (https://github.com/RadeonOpenCompute/llvm-project roc-6.4.0 25133 c7fe45cf4b819c5991fe208aaa96edf142730f1d)"
	.section	".note.GNU-stack","",@progbits
	.addrsig
	.addrsig_sym __hip_cuid_a17f6a52034ab023
	.amdgpu_metadata
---
amdhsa.kernels:
  - .args:
      - .actual_access:  read_only
        .address_space:  global
        .offset:         0
        .size:           8
        .value_kind:     global_buffer
      - .offset:         8
        .size:           8
        .value_kind:     by_value
      - .actual_access:  read_only
        .address_space:  global
        .offset:         16
        .size:           8
        .value_kind:     global_buffer
      - .actual_access:  read_only
        .address_space:  global
        .offset:         24
        .size:           8
        .value_kind:     global_buffer
      - .actual_access:  read_only
        .address_space:  global
        .offset:         32
        .size:           8
        .value_kind:     global_buffer
      - .offset:         40
        .size:           8
        .value_kind:     by_value
      - .actual_access:  read_only
        .address_space:  global
        .offset:         48
        .size:           8
        .value_kind:     global_buffer
      - .actual_access:  read_only
        .address_space:  global
        .offset:         56
        .size:           8
        .value_kind:     global_buffer
      - .offset:         64
        .size:           4
        .value_kind:     by_value
      - .actual_access:  read_only
        .address_space:  global
        .offset:         72
        .size:           8
        .value_kind:     global_buffer
      - .actual_access:  read_only
        .address_space:  global
        .offset:         80
        .size:           8
        .value_kind:     global_buffer
      - .actual_access:  read_only
        .address_space:  global
        .offset:         88
        .size:           8
        .value_kind:     global_buffer
      - .actual_access:  write_only
        .address_space:  global
        .offset:         96
        .size:           8
        .value_kind:     global_buffer
    .group_segment_fixed_size: 0
    .kernarg_segment_align: 8
    .kernarg_segment_size: 104
    .language:       OpenCL C
    .language_version:
      - 2
      - 0
    .max_flat_workgroup_size: 234
    .name:           fft_rtc_back_len936_factors_2_2_13_2_3_3_wgs_234_tpt_78_halfLds_half_op_CI_CI_sbrr_dirReg
    .private_segment_fixed_size: 0
    .sgpr_count:     36
    .sgpr_spill_count: 0
    .symbol:         fft_rtc_back_len936_factors_2_2_13_2_3_3_wgs_234_tpt_78_halfLds_half_op_CI_CI_sbrr_dirReg.kd
    .uniform_work_group_size: 1
    .uses_dynamic_stack: false
    .vgpr_count:     78
    .vgpr_spill_count: 0
    .wavefront_size: 64
amdhsa.target:   amdgcn-amd-amdhsa--gfx906
amdhsa.version:
  - 1
  - 2
...

	.end_amdgpu_metadata
